;; amdgpu-corpus repo=LLNL/RAJAPerf kind=compiled arch=gfx1201 opt=O3
	.amdgcn_target "amdgcn-amd-amdhsa--gfx1201"
	.amdhsa_code_object_version 6
	.section	.text._ZN8rajaperf4apps6edge3dILm256EEEvPdS2_S2_S2_S2_S2_S2_S2_S2_S2_S2_S2_S2_S2_S2_S2_S2_S2_S2_S2_S2_S2_S2_S2_S2_ll,"axG",@progbits,_ZN8rajaperf4apps6edge3dILm256EEEvPdS2_S2_S2_S2_S2_S2_S2_S2_S2_S2_S2_S2_S2_S2_S2_S2_S2_S2_S2_S2_S2_S2_S2_S2_ll,comdat
	.protected	_ZN8rajaperf4apps6edge3dILm256EEEvPdS2_S2_S2_S2_S2_S2_S2_S2_S2_S2_S2_S2_S2_S2_S2_S2_S2_S2_S2_S2_S2_S2_S2_S2_ll ; -- Begin function _ZN8rajaperf4apps6edge3dILm256EEEvPdS2_S2_S2_S2_S2_S2_S2_S2_S2_S2_S2_S2_S2_S2_S2_S2_S2_S2_S2_S2_S2_S2_S2_S2_ll
	.globl	_ZN8rajaperf4apps6edge3dILm256EEEvPdS2_S2_S2_S2_S2_S2_S2_S2_S2_S2_S2_S2_S2_S2_S2_S2_S2_S2_S2_S2_S2_S2_S2_S2_ll
	.p2align	8
	.type	_ZN8rajaperf4apps6edge3dILm256EEEvPdS2_S2_S2_S2_S2_S2_S2_S2_S2_S2_S2_S2_S2_S2_S2_S2_S2_S2_S2_S2_S2_S2_S2_S2_ll,@function
_ZN8rajaperf4apps6edge3dILm256EEEvPdS2_S2_S2_S2_S2_S2_S2_S2_S2_S2_S2_S2_S2_S2_S2_S2_S2_S2_S2_S2_S2_S2_S2_S2_ll: ; @_ZN8rajaperf4apps6edge3dILm256EEEvPdS2_S2_S2_S2_S2_S2_S2_S2_S2_S2_S2_S2_S2_S2_S2_S2_S2_S2_S2_S2_S2_S2_S2_S2_ll
; %bb.0:
	s_clause 0x1
	s_load_b128 s[24:27], s[0:1], 0xc0
	s_load_b64 s[2:3], s[0:1], 0xd0
	s_mov_b32 s20, ttmp9
	s_mov_b32 s21, 0
	s_delay_alu instid0(SALU_CYCLE_1) | instskip(SKIP_2) | instid1(SALU_CYCLE_1)
	s_lshl_b64 s[4:5], s[20:21], 8
	s_wait_kmcnt 0x0
	s_add_nc_u64 s[4:5], s[26:27], s[4:5]
	v_add_co_u32 v0, s4, s4, v0
	s_wait_alu 0xf1ff
	v_add_co_ci_u32_e64 v1, null, s5, 0, s4
	s_delay_alu instid0(VALU_DEP_1)
	v_cmp_gt_i64_e32 vcc_lo, s[2:3], v[0:1]
	s_and_saveexec_b32 s2, vcc_lo
	s_cbranch_execz .LBB0_11
; %bb.1:
	s_load_b512 s[4:19], s[0:1], 0x0
	v_lshlrev_b64_e32 v[47:48], 3, v[0:1]
	s_clause 0x1
	s_load_b512 s[52:67], s[0:1], 0x40
	s_load_b512 s[36:51], s[0:1], 0x80
	v_mov_b32_e32 v134, 0
	v_dual_mov_b32 v135, 0 :: v_dual_mov_b32 v60, 0
	v_dual_mov_b32 v61, 0 :: v_dual_mov_b32 v94, 0
	s_mov_b32 s20, s21
	s_mov_b32 s22, s21
	;; [unrolled: 1-line block ×3, first 2 shown]
	v_mov_b32_e32 v138, 0
	v_dual_mov_b32 v186, 0 :: v_dual_mov_b32 v139, 0
	v_dual_mov_b32 v66, 0 :: v_dual_mov_b32 v187, 0
	;; [unrolled: 1-line block ×3, first 2 shown]
	v_mov_b32_e32 v63, 0
	s_wait_kmcnt 0x0
	v_add_co_u32 v0, vcc_lo, s6, v47
	s_delay_alu instid0(VALU_DEP_1)
	v_add_co_ci_u32_e64 v1, null, s7, v48, vcc_lo
	v_add_co_u32 v2, vcc_lo, s8, v47
	s_wait_alu 0xfffd
	v_add_co_ci_u32_e64 v3, null, s9, v48, vcc_lo
	v_add_co_u32 v4, vcc_lo, s10, v47
	s_wait_alu 0xfffd
	;; [unrolled: 3-line block ×3, first 2 shown]
	v_add_co_ci_u32_e64 v7, null, s13, v48, vcc_lo
	global_load_b64 v[8:9], v[0:1], off
	global_load_b64 v[14:15], v[2:3], off
	global_load_b64 v[4:5], v[4:5], off
	global_load_b64 v[6:7], v[6:7], off
	v_add_co_u32 v0, vcc_lo, s14, v47
	s_wait_alu 0xfffd
	v_add_co_ci_u32_e64 v1, null, s15, v48, vcc_lo
	v_add_co_u32 v2, vcc_lo, s16, v47
	s_wait_alu 0xfffd
	v_add_co_ci_u32_e64 v3, null, s17, v48, vcc_lo
	v_add_co_u32 v10, vcc_lo, s18, v47
	s_wait_alu 0xfffd
	v_add_co_ci_u32_e64 v11, null, s19, v48, vcc_lo
	v_add_co_u32 v12, vcc_lo, s52, v47
	s_wait_alu 0xfffd
	v_add_co_ci_u32_e64 v13, null, s53, v48, vcc_lo
	v_add_co_u32 v16, vcc_lo, s54, v47
	s_wait_alu 0xfffd
	v_add_co_ci_u32_e64 v17, null, s55, v48, vcc_lo
	global_load_b64 v[18:19], v[0:1], off
	global_load_b64 v[20:21], v[2:3], off
	global_load_b64 v[22:23], v[10:11], off
	global_load_b64 v[24:25], v[12:13], off
	global_load_b64 v[16:17], v[16:17], off
	v_add_co_u32 v0, vcc_lo, s56, v47
	s_wait_alu 0xfffd
	v_add_co_ci_u32_e64 v1, null, s57, v48, vcc_lo
	v_add_co_u32 v2, vcc_lo, s58, v47
	s_wait_alu 0xfffd
	v_add_co_ci_u32_e64 v3, null, s59, v48, vcc_lo
	v_add_co_u32 v10, vcc_lo, s60, v47
	s_wait_alu 0xfffd
	v_add_co_ci_u32_e64 v11, null, s61, v48, vcc_lo
	v_add_co_u32 v12, vcc_lo, s62, v47
	s_wait_alu 0xfffd
	v_add_co_ci_u32_e64 v13, null, s63, v48, vcc_lo
	v_add_co_u32 v26, vcc_lo, s64, v47
	s_wait_alu 0xfffd
	v_add_co_ci_u32_e64 v27, null, s65, v48, vcc_lo
	global_load_b64 v[28:29], v[0:1], off
	;; [unrolled: 20-line block ×3, first 2 shown]
	global_load_b64 v[40:41], v[2:3], off
	global_load_b64 v[42:43], v[10:11], off
	;; [unrolled: 1-line block ×4, first 2 shown]
	v_add_co_u32 v0, vcc_lo, s46, v47
	s_wait_alu 0xfffd
	v_add_co_ci_u32_e64 v1, null, s47, v48, vcc_lo
	v_add_co_u32 v2, vcc_lo, s48, v47
	s_wait_alu 0xfffd
	v_add_co_ci_u32_e64 v3, null, s49, v48, vcc_lo
	;; [unrolled: 3-line block ×4, first 2 shown]
	v_add_co_u32 v46, vcc_lo, s44, v47
	scratch_store_b64 off, v[47:48], off offset:2128 ; 8-byte Folded Spill
	s_wait_alu 0xfffd
	v_add_co_ci_u32_e64 v47, null, s45, v48, vcc_lo
	global_load_b64 v[48:49], v[0:1], off
	global_load_b64 v[50:51], v[2:3], off
	;; [unrolled: 1-line block ×5, first 2 shown]
	v_mov_b32_e32 v12, 0
	v_dual_mov_b32 v13, 0 :: v_dual_mov_b32 v10, v134
	v_dual_mov_b32 v11, v135 :: v_dual_mov_b32 v58, v134
	;; [unrolled: 1-line block ×3, first 2 shown]
	v_mov_b32_e32 v1, s21
	scratch_store_b128 off, v[10:13], off offset:1152 ; 16-byte Folded Spill
	v_dual_mov_b32 v2, s22 :: v_dual_mov_b32 v3, s23
	v_dual_mov_b32 v64, v134 :: v_dual_mov_b32 v65, v135
	scratch_store_b128 off, v[58:61], off offset:1168 ; 16-byte Folded Spill
	v_dual_mov_b32 v60, v134 :: v_dual_mov_b32 v61, v135
	v_dual_mov_b32 v230, 0 :: v_dual_mov_b32 v57, s21
	;; [unrolled: 1-line block ×3, first 2 shown]
	s_clause 0x1f
	scratch_store_b128 off, v[64:67], off offset:1200
	scratch_store_b128 off, v[60:63], off offset:1184
	scratch_store_b128 off, v[0:3], off
	scratch_store_b128 off, v[0:3], off offset:16
	scratch_store_b128 off, v[0:3], off offset:32
	;; [unrolled: 1-line block ×29, first 2 shown]
	s_clause 0x7
	scratch_store_b128 off, v[0:3], off offset:168
	scratch_store_b64 off, v[56:57], off offset:184
	scratch_store_b128 off, v[0:3], off offset:360
	scratch_store_b64 off, v[56:57], off offset:376
	scratch_store_b128 off, v[0:3], off offset:552
	scratch_store_b64 off, v[56:57], off offset:568
	scratch_store_b128 off, v[0:3], off offset:744
	scratch_store_b64 off, v[56:57], off offset:760
	v_mov_b32_e32 v182, 0
	v_mov_b32_e32 v208, 0
	;; [unrolled: 1-line block ×13, first 2 shown]
	v_dual_mov_b32 v112, 0 :: v_dual_mov_b32 v183, 0
	v_dual_mov_b32 v194, 0 :: v_dual_mov_b32 v209, 0
	;; [unrolled: 1-line block ×7, first 2 shown]
	v_mov_b32_e32 v234, 0
	v_dual_mov_b32 v252, 0 :: v_dual_mov_b32 v251, v135
	v_dual_mov_b32 v238, 0 :: v_dual_mov_b32 v237, v135
	;; [unrolled: 1-line block ×11, first 2 shown]
	v_mov_b32_e32 v91, 0
	v_dual_mov_b32 v113, 0 :: v_dual_mov_b32 v86, 0
	v_mov_b32_e32 v150, 0
	s_mov_b32 s0, 0x74df99c7
	v_mov_b32_e32 v95, 0
	v_mov_b32_e32 v195, 0
	;; [unrolled: 1-line block ×8, first 2 shown]
	v_dual_mov_b32 v137, v135 :: v_dual_mov_b32 v136, v134
	v_dual_mov_b32 v92, v134 :: v_dual_mov_b32 v93, v135
	;; [unrolled: 1-line block ×22, first 2 shown]
	v_mov_b32_e32 v97, v135
	v_mov_b32_e32 v81, v135
	;; [unrolled: 1-line block ×4, first 2 shown]
	v_dual_mov_b32 v215, 0 :: v_dual_mov_b32 v212, v134
	v_dual_mov_b32 v191, 0 :: v_dual_mov_b32 v188, v134
	;; [unrolled: 1-line block ×3, first 2 shown]
	v_mov_b32_e32 v103, v135
	v_mov_b32_e32 v87, 0
	;; [unrolled: 1-line block ×3, first 2 shown]
	s_mov_b32 s1, 0x3fcb0cb1
	s_mov_b32 s2, 0x4ad4b81f
	;; [unrolled: 1-line block ×3, first 2 shown]
	s_mov_b32 s10, -1
	s_mov_b32 s3, 0x358dee7a
	s_mov_b32 s7, 0x3fe93cd3
	s_mov_b64 s[8:9], s[0:1]
	s_wait_loadcnt 0x15
	v_add_f64_e64 v[106:107], v[4:5], -v[14:15]
	s_wait_loadcnt 0x14
	v_add_f64_e64 v[12:13], v[6:7], -v[8:9]
	v_add_f64_e64 v[74:75], v[4:5], -v[6:7]
	s_wait_loadcnt 0x13
	v_add_f64_e64 v[10:11], v[18:19], -v[8:9]
	s_wait_loadcnt 0x12
	;; [unrolled: 2-line block ×4, first 2 shown]
	v_add_f64_e64 v[64:65], v[24:25], -v[18:19]
	v_add_f64_e64 v[66:67], v[22:23], -v[24:25]
	s_wait_loadcnt 0xc
	v_add_f64_e64 v[18:19], v[30:31], -v[32:33]
	scratch_store_b64 off, v[10:11], off offset:2032 ; 8-byte Folded Spill
	v_add_f64_e64 v[10:11], v[20:21], -v[14:15]
	v_add_f64_e64 v[20:21], v[32:33], -v[16:17]
	s_wait_loadcnt 0x9
	v_add_f64_e64 v[72:73], v[38:39], -v[26:27]
	s_wait_loadcnt 0x8
	v_add_f64_e64 v[70:71], v[40:41], -v[34:35]
	scratch_store_b64 off, v[10:11], off offset:2040 ; 8-byte Folded Spill
	v_add_f64_e64 v[10:11], v[22:23], -v[4:5]
	v_add_f64_e64 v[22:23], v[30:31], -v[28:29]
	scratch_store_b64 off, v[10:11], off offset:2048 ; 8-byte Folded Spill
	v_add_f64_e64 v[10:11], v[24:25], -v[6:7]
	v_add_f64_e64 v[24:25], v[26:27], -v[34:35]
	v_mov_b32_e32 v6, 0
	v_mov_b32_e32 v7, 0
	scratch_store_b64 off, v[10:11], off offset:2056 ; 8-byte Folded Spill
	v_add_f64_e64 v[10:11], v[34:35], -v[16:17]
	v_mov_b32_e32 v34, 0
	v_mov_b32_e32 v35, 0
	scratch_store_b64 off, v[10:11], off offset:2064 ; 8-byte Folded Spill
	v_add_f64_e64 v[10:11], v[26:27], -v[28:29]
	s_wait_loadcnt 0x6
	v_add_f64_e64 v[26:27], v[44:45], -v[42:43]
	scratch_store_b64 off, v[10:11], off offset:2072 ; 8-byte Folded Spill
	v_add_f64_e64 v[10:11], v[38:39], -v[30:31]
	s_wait_loadcnt 0x0
	v_add_f64_e64 v[30:31], v[36:37], -v[46:47]
	scratch_store_b64 off, v[10:11], off offset:2080 ; 8-byte Folded Spill
	v_add_f64_e64 v[10:11], v[40:41], -v[32:33]
	v_add_f64_e64 v[40:41], v[38:39], -v[40:41]
	v_dual_mov_b32 v32, v134 :: v_dual_mov_b32 v33, v135
	scratch_store_b64 off, v[10:11], off offset:2088 ; 8-byte Folded Spill
	v_add_f64_e64 v[10:11], v[48:49], -v[42:43]
	scratch_store_b64 off, v[10:11], off offset:2096 ; 8-byte Folded Spill
	v_add_f64_e64 v[10:11], v[50:51], -v[44:45]
	;; [unrolled: 2-line block ×3, first 2 shown]
	v_add_f64_e64 v[36:37], v[36:37], -v[44:45]
	v_add_f64_e64 v[44:45], v[54:55], -v[48:49]
	scratch_store_b64 off, v[10:11], off offset:2112 ; 8-byte Folded Spill
	v_add_f64_e64 v[10:11], v[54:55], -v[46:47]
	scratch_store_b64 off, v[10:11], off offset:2120 ; 8-byte Folded Spill
	v_add_f64_e64 v[10:11], v[14:15], -v[8:9]
	v_add_f64_e64 v[14:15], v[28:29], -v[16:17]
	;; [unrolled: 1-line block ×6, first 2 shown]
	v_mov_b32_e32 v54, 0
	v_dual_mov_b32 v55, 0 :: v_dual_mov_b32 v52, v134
	v_mov_b32_e32 v53, v135
	s_clause 0x1b
	scratch_store_b128 off, v[0:3], off offset:936
	scratch_store_b64 off, v[56:57], off offset:952
	scratch_store_b128 off, v[0:3], off offset:1040
	scratch_store_b64 off, v[56:57], off offset:1144
	scratch_store_b64 off, v[10:11], off offset:1848
	scratch_store_b64 off, v[12:13], off offset:1856
	scratch_store_b64 off, v[74:75], off offset:1864
	scratch_store_b64 off, v[106:107], off offset:1872
	scratch_store_b64 off, v[62:63], off offset:1880
	scratch_store_b64 off, v[64:65], off offset:1888
	scratch_store_b64 off, v[66:67], off offset:1896
	scratch_store_b64 off, v[68:69], off offset:1904
	scratch_store_b64 off, v[14:15], off offset:1912
	scratch_store_b64 off, v[20:21], off offset:1920
	scratch_store_b64 off, v[18:19], off offset:1928
	scratch_store_b64 off, v[22:23], off offset:1936
	scratch_store_b64 off, v[24:25], off offset:1944
	scratch_store_b64 off, v[70:71], off offset:1952
	scratch_store_b64 off, v[40:41], off offset:1960
	scratch_store_b64 off, v[72:73], off offset:1968
	scratch_store_b64 off, v[26:27], off offset:1976
	scratch_store_b64 off, v[28:29], off offset:1984
	scratch_store_b64 off, v[30:31], off offset:1992
	scratch_store_b64 off, v[36:37], off offset:2000
	scratch_store_b64 off, v[42:43], off offset:2008
	scratch_store_b64 off, v[44:45], off offset:2016
	scratch_store_b64 off, v[46:47], off offset:2024
	scratch_store_b64 off, v[48:49], off offset:1216
	s_branch .LBB0_3
.LBB0_2:                                ;   in Loop: Header=BB0_3 Depth=1
	s_mov_b32 s10, 0
	s_and_not1_b32 vcc_lo, exec_lo, s14
	s_mov_b64 s[8:9], s[6:7]
	s_wait_alu 0xfffe
	s_cbranch_vccz .LBB0_8
.LBB0_3:                                ; =>This Loop Header: Depth=1
                                        ;     Child Loop BB0_4 Depth 2
                                        ;       Child Loop BB0_5 Depth 3
	s_wait_alu 0xfffe
	v_add_f64_e64 v[118:119], -s[8:9], 1.0
	s_xor_b32 s14, s10, -1
	s_mov_b32 s12, -1
	s_mov_b64 s[10:11], s[0:1]
.LBB0_4:                                ;   Parent Loop BB0_3 Depth=1
                                        ; =>  This Loop Header: Depth=2
                                        ;       Child Loop BB0_5 Depth 3
	s_wait_alu 0xfffe
	v_add_f64_e64 v[0:1], -s[10:11], 1.0
	v_mul_f64_e64 v[50:51], s[8:9], s[10:11]
	s_mov_b32 s16, -1
	s_xor_b32 s15, s12, -1
	s_mov_b64 s[12:13], s[0:1]
	s_clause 0x1
	scratch_load_b64 v[2:3], off, off offset:2072
	scratch_load_b64 v[4:5], off, off offset:2104
	v_mul_f64_e32 v[8:9], s[8:9], v[0:1]
	scratch_store_b64 off, v[0:1], off offset:1840 ; 8-byte Folded Spill
	v_mul_f64_e32 v[16:17], v[118:119], v[0:1]
	scratch_load_b64 v[0:1], off, off offset:2040 ; 8-byte Folded Reload
	s_clause 0x1
	scratch_store_b64 off, v[8:9], off offset:1784
	scratch_store_b64 off, v[16:17], off offset:1792
	s_wait_loadcnt 0x2
	v_mul_f64_e32 v[2:3], v[2:3], v[8:9]
	s_wait_loadcnt 0x1
	v_mul_f64_e32 v[4:5], v[4:5], v[8:9]
	;; [unrolled: 2-line block ×3, first 2 shown]
	scratch_load_b64 v[8:9], off, off offset:2032 ; 8-byte Folded Reload
	s_wait_loadcnt 0x0
	v_fma_f64 v[0:1], v[8:9], v[16:17], v[0:1]
	scratch_load_b64 v[8:9], off, off offset:2064 ; 8-byte Folded Reload
	s_wait_loadcnt 0x0
	v_fma_f64 v[2:3], v[8:9], v[16:17], v[2:3]
	;; [unrolled: 3-line block ×3, first 2 shown]
	scratch_load_b64 v[8:9], off, off offset:2048 ; 8-byte Folded Reload
	v_mul_f64_e32 v[16:17], s[10:11], v[118:119]
	s_clause 0x1
	scratch_store_b64 off, v[50:51], off offset:1800
	scratch_store_b64 off, v[16:17], off offset:1808
	s_wait_loadcnt 0x0
	v_fma_f64 v[0:1], v[8:9], v[50:51], v[0:1]
	scratch_load_b64 v[8:9], off, off offset:2080 ; 8-byte Folded Reload
	s_wait_loadcnt 0x0
	v_fma_f64 v[2:3], v[8:9], v[50:51], v[2:3]
	scratch_load_b64 v[8:9], off, off offset:2112 ; 8-byte Folded Reload
	;; [unrolled: 3-line block ×3, first 2 shown]
	s_wait_loadcnt 0x0
	v_fma_f64 v[0:1], v[8:9], v[16:17], v[0:1]
	scratch_store_b64 off, v[0:1], off offset:1816 ; 8-byte Folded Spill
	scratch_load_b64 v[0:1], off, off offset:2088 ; 8-byte Folded Reload
	s_wait_loadcnt 0x0
	v_fma_f64 v[0:1], v[0:1], v[16:17], v[2:3]
	scratch_store_b64 off, v[0:1], off offset:1824 ; 8-byte Folded Spill
	scratch_load_b64 v[0:1], off, off offset:2120 ; 8-byte Folded Reload
	s_wait_loadcnt 0x0
	v_fma_f64 v[0:1], v[0:1], v[16:17], v[4:5]
	scratch_store_b64 off, v[0:1], off offset:1832 ; 8-byte Folded Spill
.LBB0_5:                                ;   Parent Loop BB0_3 Depth=1
                                        ;     Parent Loop BB0_4 Depth=2
                                        ; =>    This Inner Loop Header: Depth=3
	scratch_load_b64 v[148:149], off, off offset:1840 ; 8-byte Folded Reload
	s_wait_alu 0xfffe
	v_add_f64_e64 v[16:17], -s[12:13], 1.0
	v_dual_mov_b32 v143, v61 :: v_dual_mov_b32 v142, v60
	v_dual_mov_b32 v141, v59 :: v_dual_mov_b32 v140, v58
	;; [unrolled: 1-line block ×6, first 2 shown]
	s_clause 0x2
	scratch_load_b64 v[210:211], off, off offset:1816
	scratch_load_b64 v[240:241], off, off offset:1824
	;; [unrolled: 1-line block ×3, first 2 shown]
	v_mul_f64_e32 v[0:1], s[10:11], v[16:17]
	s_delay_alu instid0(VALU_DEP_1)
	v_mul_f64_e32 v[4:5], v[18:19], v[0:1]
	v_mul_f64_e32 v[8:9], v[30:31], v[0:1]
	;; [unrolled: 1-line block ×4, first 2 shown]
	s_wait_loadcnt 0x3
	v_mul_f64_e32 v[2:3], v[148:149], v[16:17]
	s_delay_alu instid0(VALU_DEP_1)
	v_fma_f64 v[4:5], v[14:15], v[2:3], v[4:5]
	v_fma_f64 v[8:9], v[26:27], v[2:3], v[8:9]
	v_mul_f64_e32 v[26:27], s[8:9], v[16:17]
	v_mul_f64_e32 v[14:15], v[20:21], v[18:19]
	;; [unrolled: 1-line block ×4, first 2 shown]
	s_delay_alu instid0(VALU_DEP_3) | instskip(NEXT) | instid1(VALU_DEP_3)
	v_fma_f64 v[14:15], v[22:23], v[26:27], v[14:15]
	v_fma_f64 v[20:21], v[36:37], v[26:27], v[20:21]
	s_delay_alu instid0(VALU_DEP_3) | instskip(SKIP_4) | instid1(VALU_DEP_4)
	v_fma_f64 v[4:5], v[24:25], v[28:29], v[4:5]
	v_mul_f64_e64 v[36:37], s[10:11], s[12:13]
	v_fma_f64 v[8:9], v[42:43], v[28:29], v[8:9]
	v_fma_f64 v[14:15], v[70:71], v[30:31], v[14:15]
	;; [unrolled: 1-line block ×4, first 2 shown]
	scratch_load_b64 v[4:5], off, off offset:1216 ; 8-byte Folded Reload
	v_fma_f64 v[24:25], v[46:47], v[36:37], v[8:9]
	v_mul_f64_e64 v[8:9], s[8:9], s[12:13]
	s_delay_alu instid0(VALU_DEP_1) | instskip(SKIP_1) | instid1(VALU_DEP_1)
	v_fma_f64 v[14:15], v[72:73], v[8:9], v[14:15]
	s_wait_loadcnt 0x3
	v_mul_f64_e32 v[54:55], v[210:211], v[14:15]
	s_wait_loadcnt 0x0
	v_fma_f64 v[48:49], v[4:5], v[8:9], v[20:21]
	v_mul_f64_e32 v[4:5], v[14:15], v[24:25]
	s_delay_alu instid0(VALU_DEP_2) | instskip(NEXT) | instid1(VALU_DEP_2)
	v_mul_f64_e32 v[20:21], v[50:51], v[48:49]
	v_mul_f64_e32 v[22:23], v[210:211], v[4:5]
	v_fma_f64 v[4:5], v[50:51], v[48:49], -v[4:5]
	s_delay_alu instid0(VALU_DEP_2) | instskip(SKIP_1) | instid1(VALU_DEP_1)
	v_fma_f64 v[20:21], v[210:211], v[20:21], -v[22:23]
	v_mul_f64_e32 v[22:23], v[12:13], v[18:19]
	v_fma_f64 v[22:23], v[106:107], v[26:27], v[22:23]
	s_delay_alu instid0(VALU_DEP_1) | instskip(NEXT) | instid1(VALU_DEP_1)
	v_fma_f64 v[22:23], v[64:65], v[30:31], v[22:23]
	v_fma_f64 v[56:57], v[68:69], v[8:9], v[22:23]
	s_delay_alu instid0(VALU_DEP_1) | instskip(SKIP_2) | instid1(VALU_DEP_3)
	v_mul_f64_e32 v[22:23], v[56:57], v[24:25]
	v_mul_f64_e32 v[38:39], v[56:57], v[50:51]
	v_fma_f64 v[54:55], v[240:241], v[56:57], -v[54:55]
	v_fma_f64 v[20:21], v[240:241], v[22:23], v[20:21]
	v_mul_f64_e32 v[22:23], v[74:75], v[0:1]
	s_delay_alu instid0(VALU_DEP_1) | instskip(NEXT) | instid1(VALU_DEP_1)
	v_fma_f64 v[22:23], v[10:11], v[2:3], v[22:23]
	v_fma_f64 v[22:23], v[62:63], v[28:29], v[22:23]
	s_delay_alu instid0(VALU_DEP_1) | instskip(NEXT) | instid1(VALU_DEP_1)
	v_fma_f64 v[60:61], v[66:67], v[36:37], v[22:23]
	v_mul_f64_e32 v[22:23], v[60:61], v[48:49]
	v_mul_f64_e32 v[40:41], v[60:61], v[14:15]
	;; [unrolled: 1-line block ×3, first 2 shown]
	s_delay_alu instid0(VALU_DEP_3) | instskip(SKIP_1) | instid1(VALU_DEP_3)
	v_fma_f64 v[20:21], -v[240:241], v[22:23], v[20:21]
	v_fma_f64 v[22:23], v[56:57], v[24:25], -v[22:23]
	v_fma_f64 v[52:53], v[210:211], v[50:51], -v[52:53]
	s_delay_alu instid0(VALU_DEP_3) | instskip(SKIP_1) | instid1(VALU_DEP_2)
	v_fma_f64 v[20:21], -v[124:125], v[38:39], v[20:21]
	v_fma_f64 v[38:39], v[60:61], v[14:15], -v[38:39]
	v_fma_f64 v[62:63], v[124:125], v[40:41], v[20:21]
	s_delay_alu instid0(VALU_DEP_1) | instskip(NEXT) | instid1(VALU_DEP_1)
	v_add_f64_e32 v[20:21], s[2:3], v[62:63]
	v_div_scale_f64 v[40:41], null, v[20:21], v[20:21], 1.0
	s_delay_alu instid0(VALU_DEP_1) | instskip(NEXT) | instid1(TRANS32_DEP_1)
	v_rcp_f64_e32 v[42:43], v[40:41]
	v_fma_f64 v[44:45], -v[40:41], v[42:43], 1.0
	s_delay_alu instid0(VALU_DEP_1) | instskip(NEXT) | instid1(VALU_DEP_1)
	v_fma_f64 v[42:43], v[42:43], v[44:45], v[42:43]
	v_fma_f64 v[44:45], -v[40:41], v[42:43], 1.0
	s_delay_alu instid0(VALU_DEP_1) | instskip(SKIP_1) | instid1(VALU_DEP_1)
	v_fma_f64 v[42:43], v[42:43], v[44:45], v[42:43]
	v_div_scale_f64 v[44:45], vcc_lo, 1.0, v[20:21], 1.0
	v_mul_f64_e32 v[46:47], v[44:45], v[42:43]
	s_delay_alu instid0(VALU_DEP_1) | instskip(SKIP_2) | instid1(VALU_DEP_2)
	v_fma_f64 v[40:41], -v[40:41], v[46:47], v[44:45]
	v_mul_f64_e32 v[44:45], v[124:125], v[56:57]
	s_wait_alu 0xfffd
	v_div_fmas_f64 v[40:41], v[40:41], v[42:43], v[46:47]
	v_mul_f64_e32 v[42:43], v[124:125], v[50:51]
	v_mul_f64_e32 v[46:47], v[210:211], v[24:25]
	s_delay_alu instid0(VALU_DEP_4) | instskip(NEXT) | instid1(VALU_DEP_4)
	v_fma_f64 v[44:45], v[210:211], v[48:49], -v[44:45]
	v_div_fixup_f64 v[20:21], v[40:41], v[20:21], 1.0
	v_mul_f64_e32 v[40:41], v[240:241], v[48:49]
	v_fma_f64 v[42:43], v[240:241], v[24:25], -v[42:43]
	v_fma_f64 v[46:47], v[124:125], v[60:61], -v[46:47]
	s_delay_alu instid0(VALU_DEP_4) | instskip(NEXT) | instid1(VALU_DEP_4)
	v_mul_f64_e32 v[76:77], v[4:5], v[20:21]
	v_fma_f64 v[40:41], v[124:125], v[14:15], -v[40:41]
	s_delay_alu instid0(VALU_DEP_4) | instskip(NEXT) | instid1(VALU_DEP_4)
	v_mul_f64_e32 v[42:43], v[42:43], v[20:21]
	v_mul_f64_e32 v[46:47], v[46:47], v[20:21]
	v_mul_f64_e32 v[4:5], v[44:45], v[20:21]
	v_mul_f64_e32 v[44:45], v[52:53], v[20:21]
	v_mul_f64_e32 v[52:53], v[22:23], v[20:21]
	v_mul_f64_e32 v[54:55], v[54:55], v[20:21]
	v_mul_f64_e32 v[38:39], v[38:39], v[20:21]
	v_mul_f64_e32 v[40:41], v[40:41], v[20:21]
	v_mul_f64_e32 v[72:73], 0, v[42:43]
	v_mul_f64_e32 v[58:59], 0, v[46:47]
	v_mul_f64_e32 v[74:75], 0, v[44:45]
	v_mul_f64_e32 v[78:79], 0, v[54:55]
	s_delay_alu instid0(VALU_DEP_4) | instskip(NEXT) | instid1(VALU_DEP_4)
	v_fma_f64 v[64:65], v[0:1], v[40:41], v[72:73]
	v_fma_f64 v[20:21], v[2:3], v[4:5], v[58:59]
	;; [unrolled: 1-line block ×18, first 2 shown]
	v_mul_f64_e32 v[0:1], v[96:97], v[96:97]
	v_mul_f64_e32 v[2:3], v[96:97], v[64:65]
	v_mul_f64_e32 v[36:37], v[96:97], v[246:247]
	s_delay_alu instid0(VALU_DEP_3) | instskip(NEXT) | instid1(VALU_DEP_3)
	v_fma_f64 v[0:1], v[98:99], v[98:99], v[0:1]
	v_fma_f64 v[2:3], v[98:99], v[20:21], v[2:3]
	s_delay_alu instid0(VALU_DEP_3) | instskip(NEXT) | instid1(VALU_DEP_3)
	v_fma_f64 v[36:37], v[98:99], v[242:243], v[36:37]
	v_fma_f64 v[66:67], v[100:101], v[100:101], v[0:1]
	v_ldexp_f64 v[0:1], |v[62:63]|, -3
	s_delay_alu instid0(VALU_DEP_4) | instskip(NEXT) | instid1(VALU_DEP_4)
	v_fma_f64 v[2:3], v[100:101], v[22:23], v[2:3]
	v_fma_f64 v[36:37], v[100:101], v[244:245], v[36:37]
	s_delay_alu instid0(VALU_DEP_3) | instskip(NEXT) | instid1(VALU_DEP_3)
	v_fma_f64 v[220:221], v[0:1], v[66:67], v[102:103]
	v_fma_f64 v[222:223], v[0:1], v[2:3], v[104:105]
	;; [unrolled: 1-line block ×6, first 2 shown]
	v_mul_f64_e32 v[36:37], 0, v[40:41]
	v_fma_f64 v[102:103], v[52:53], 0, v[2:3]
	v_fma_f64 v[104:105], v[76:77], 0, v[66:67]
	;; [unrolled: 1-line block ×3, first 2 shown]
	s_delay_alu instid0(VALU_DEP_4) | instskip(SKIP_2) | instid1(VALU_DEP_2)
	v_fma_f64 v[70:71], v[26:27], v[42:43], v[36:37]
	v_fma_f64 v[68:69], v[18:19], v[42:43], v[36:37]
	v_mul_f64_e32 v[2:3], v[96:97], v[102:103]
	v_fma_f64 v[108:109], v[76:77], 0, v[68:69]
	s_delay_alu instid0(VALU_DEP_2) | instskip(NEXT) | instid1(VALU_DEP_1)
	v_fma_f64 v[2:3], v[98:99], v[104:105], v[2:3]
	v_fma_f64 v[2:3], v[100:101], v[28:29], v[2:3]
	s_delay_alu instid0(VALU_DEP_1) | instskip(SKIP_2) | instid1(VALU_DEP_2)
	v_fma_f64 v[160:161], v[0:1], v[2:3], v[160:161]
	v_mul_f64_e32 v[2:3], 0, v[4:5]
	v_fma_f64 v[4:5], v[4:5], 0, v[58:59]
	v_fma_f64 v[66:67], v[18:19], v[46:47], v[2:3]
	;; [unrolled: 1-line block ×5, first 2 shown]
	s_delay_alu instid0(VALU_DEP_4)
	v_fma_f64 v[106:107], v[52:53], 0, v[66:67]
	v_fma_f64 v[66:67], v[76:77], 0, v[70:71]
	;; [unrolled: 1-line block ×5, first 2 shown]
	v_mul_f64_e32 v[18:19], v[96:97], v[106:107]
	s_delay_alu instid0(VALU_DEP_4) | instskip(NEXT) | instid1(VALU_DEP_2)
	v_mul_f64_e32 v[26:27], v[96:97], v[70:71]
	v_fma_f64 v[18:19], v[98:99], v[108:109], v[18:19]
	s_delay_alu instid0(VALU_DEP_2) | instskip(NEXT) | instid1(VALU_DEP_2)
	v_fma_f64 v[26:27], v[98:99], v[66:67], v[26:27]
	v_fma_f64 v[18:19], v[100:101], v[110:111], v[18:19]
	s_delay_alu instid0(VALU_DEP_2) | instskip(NEXT) | instid1(VALU_DEP_2)
	v_fma_f64 v[26:27], v[100:101], v[68:69], v[26:27]
	v_fma_f64 v[10:11], v[0:1], v[18:19], v[188:189]
	;; [unrolled: 1-line block ×3, first 2 shown]
	s_delay_alu instid0(VALU_DEP_3)
	v_fma_f64 v[12:13], v[0:1], v[26:27], v[190:191]
	v_fma_f64 v[26:27], v[8:9], v[42:43], v[36:37]
	;; [unrolled: 1-line block ×7, first 2 shown]
	scratch_store_b128 off, v[10:13], off offset:1224 ; 16-byte Folded Spill
	v_fma_f64 v[248:249], v[76:77], 0, v[26:27]
	v_fma_f64 v[204:205], v[52:53], 0, v[36:37]
	;; [unrolled: 1-line block ×5, first 2 shown]
	scratch_load_b64 v[12:13], off, off offset:1792 ; 8-byte Folded Reload
	v_fma_f64 v[26:27], v[54:55], 0, v[74:75]
	v_mul_f64_e32 v[8:9], v[96:97], v[204:205]
	v_mul_f64_e32 v[18:19], v[96:97], v[2:3]
	s_delay_alu instid0(VALU_DEP_2) | instskip(NEXT) | instid1(VALU_DEP_2)
	v_fma_f64 v[8:9], v[98:99], v[190:191], v[8:9]
	v_fma_f64 v[18:19], v[98:99], v[248:249], v[18:19]
	s_delay_alu instid0(VALU_DEP_2) | instskip(NEXT) | instid1(VALU_DEP_2)
	v_fma_f64 v[8:9], v[100:101], v[188:189], v[8:9]
	v_fma_f64 v[18:19], v[100:101], v[88:89], v[18:19]
	;; [unrolled: 3-line block ×3, first 2 shown]
	scratch_store_b128 off, v[8:11], off offset:1240 ; 16-byte Folded Spill
	scratch_load_b64 v[10:11], off, off offset:1784 ; 8-byte Folded Reload
	v_fma_f64 v[8:9], v[40:41], 0, v[72:73]
	s_wait_loadcnt 0x1
	v_fma_f64 v[212:213], v[12:13], v[52:53], v[4:5]
	s_delay_alu instid0(VALU_DEP_2) | instskip(SKIP_1) | instid1(VALU_DEP_3)
	v_fma_f64 v[78:79], v[12:13], v[76:77], v[8:9]
	v_fma_f64 v[214:215], v[12:13], v[38:39], v[26:27]
	v_mul_f64_e32 v[18:19], v[96:97], v[212:213]
	s_delay_alu instid0(VALU_DEP_1) | instskip(NEXT) | instid1(VALU_DEP_1)
	v_fma_f64 v[30:31], v[98:99], v[78:79], v[18:19]
	v_fma_f64 v[30:31], v[100:101], v[214:215], v[30:31]
	s_wait_loadcnt 0x0
	v_fma_f64 v[36:37], v[10:11], v[52:53], v[4:5]
	v_fma_f64 v[18:19], v[10:11], v[76:77], v[8:9]
	;; [unrolled: 1-line block ×3, first 2 shown]
	s_delay_alu instid0(VALU_DEP_4) | instskip(NEXT) | instid1(VALU_DEP_4)
	v_fma_f64 v[10:11], v[0:1], v[30:31], v[120:121]
	v_mul_f64_e32 v[40:41], v[96:97], v[36:37]
	s_delay_alu instid0(VALU_DEP_1) | instskip(NEXT) | instid1(VALU_DEP_1)
	v_fma_f64 v[40:41], v[98:99], v[18:19], v[40:41]
	v_fma_f64 v[40:41], v[100:101], v[58:59], v[40:41]
	s_delay_alu instid0(VALU_DEP_1)
	v_fma_f64 v[12:13], v[0:1], v[40:41], v[122:123]
	scratch_store_b128 off, v[10:13], off offset:1464 ; 16-byte Folded Spill
	s_clause 0x1
	scratch_load_b64 v[12:13], off, off offset:1808
	scratch_load_b64 v[10:11], off, off offset:1800
	s_wait_loadcnt 0x1
	v_fma_f64 v[74:75], v[12:13], v[52:53], v[4:5]
	s_wait_loadcnt 0x0
	v_fma_f64 v[4:5], v[10:11], v[52:53], v[4:5]
	v_fma_f64 v[72:73], v[12:13], v[76:77], v[8:9]
	;; [unrolled: 1-line block ×5, first 2 shown]
	v_mul_f64_e32 v[26:27], v[96:97], v[74:75]
	v_mul_f64_e32 v[30:31], v[96:97], v[4:5]
	s_delay_alu instid0(VALU_DEP_2) | instskip(NEXT) | instid1(VALU_DEP_2)
	v_fma_f64 v[26:27], v[98:99], v[72:73], v[26:27]
	v_fma_f64 v[30:31], v[98:99], v[8:9], v[30:31]
	s_delay_alu instid0(VALU_DEP_2) | instskip(NEXT) | instid1(VALU_DEP_2)
	v_fma_f64 v[26:27], v[100:101], v[76:77], v[26:27]
	v_fma_f64 v[30:31], v[100:101], v[84:85], v[30:31]
	;; [unrolled: 3-line block ×3, first 2 shown]
	v_mul_f64_e32 v[26:27], v[64:65], v[102:103]
	v_mul_f64_e32 v[30:31], v[64:65], v[246:247]
	scratch_store_b128 off, v[10:13], off offset:1256 ; 16-byte Folded Spill
	v_fma_f64 v[26:27], v[20:21], v[104:105], v[26:27]
	v_fma_f64 v[30:31], v[20:21], v[242:243], v[30:31]
	s_delay_alu instid0(VALU_DEP_2) | instskip(NEXT) | instid1(VALU_DEP_2)
	v_fma_f64 v[26:27], v[22:23], v[28:29], v[26:27]
	v_fma_f64 v[30:31], v[22:23], v[244:245], v[30:31]
	s_delay_alu instid0(VALU_DEP_2) | instskip(NEXT) | instid1(VALU_DEP_2)
	v_fma_f64 v[44:45], v[0:1], v[26:27], v[80:81]
	v_fma_f64 v[46:47], v[0:1], v[30:31], v[82:83]
	v_mul_f64_e32 v[26:27], v[64:65], v[106:107]
	v_mul_f64_e32 v[30:31], v[64:65], v[70:71]
	s_delay_alu instid0(VALU_DEP_2) | instskip(NEXT) | instid1(VALU_DEP_2)
	v_fma_f64 v[26:27], v[20:21], v[108:109], v[26:27]
	v_fma_f64 v[30:31], v[20:21], v[66:67], v[30:31]
	s_delay_alu instid0(VALU_DEP_2) | instskip(NEXT) | instid1(VALU_DEP_2)
	v_fma_f64 v[26:27], v[22:23], v[110:111], v[26:27]
	v_fma_f64 v[30:31], v[22:23], v[68:69], v[30:31]
	;; [unrolled: 3-line block ×3, first 2 shown]
	v_mul_f64_e32 v[26:27], v[64:65], v[204:205]
	v_mul_f64_e32 v[30:31], v[64:65], v[2:3]
	s_delay_alu instid0(VALU_DEP_2) | instskip(NEXT) | instid1(VALU_DEP_2)
	v_fma_f64 v[26:27], v[20:21], v[190:191], v[26:27]
	v_fma_f64 v[30:31], v[20:21], v[248:249], v[30:31]
	s_delay_alu instid0(VALU_DEP_2) | instskip(NEXT) | instid1(VALU_DEP_2)
	v_fma_f64 v[26:27], v[22:23], v[188:189], v[26:27]
	v_fma_f64 v[30:31], v[22:23], v[88:89], v[30:31]
	;; [unrolled: 3-line block ×3, first 2 shown]
	v_mul_f64_e32 v[26:27], v[64:65], v[212:213]
	v_mul_f64_e32 v[30:31], v[64:65], v[36:37]
	scratch_store_b128 off, v[10:13], off offset:1480 ; 16-byte Folded Spill
	v_fma_f64 v[26:27], v[20:21], v[78:79], v[26:27]
	v_fma_f64 v[30:31], v[20:21], v[18:19], v[30:31]
	s_delay_alu instid0(VALU_DEP_2) | instskip(NEXT) | instid1(VALU_DEP_2)
	v_fma_f64 v[26:27], v[22:23], v[214:215], v[26:27]
	v_fma_f64 v[30:31], v[22:23], v[58:59], v[30:31]
	s_delay_alu instid0(VALU_DEP_2) | instskip(NEXT) | instid1(VALU_DEP_2)
	v_fma_f64 v[10:11], v[0:1], v[26:27], v[130:131]
	v_fma_f64 v[12:13], v[0:1], v[30:31], v[132:133]
	v_mul_f64_e32 v[26:27], v[64:65], v[74:75]
	v_mul_f64_e32 v[30:31], v[64:65], v[4:5]
	scratch_store_b128 off, v[10:13], off offset:1352 ; 16-byte Folded Spill
	v_fma_f64 v[26:27], v[20:21], v[72:73], v[26:27]
	v_fma_f64 v[30:31], v[20:21], v[8:9], v[30:31]
	s_delay_alu instid0(VALU_DEP_2) | instskip(NEXT) | instid1(VALU_DEP_2)
	v_fma_f64 v[26:27], v[22:23], v[76:77], v[26:27]
	v_fma_f64 v[30:31], v[22:23], v[84:85], v[30:31]
	s_delay_alu instid0(VALU_DEP_2) | instskip(NEXT) | instid1(VALU_DEP_2)
	v_fma_f64 v[10:11], v[0:1], v[26:27], v[200:201]
	v_fma_f64 v[12:13], v[0:1], v[30:31], v[202:203]
	;; [unrolled: 11-line block ×3, first 2 shown]
	v_mul_f64_e32 v[26:27], v[102:103], v[106:107]
	v_mul_f64_e32 v[30:31], v[102:103], v[70:71]
	s_delay_alu instid0(VALU_DEP_2) | instskip(NEXT) | instid1(VALU_DEP_2)
	v_fma_f64 v[26:27], v[104:105], v[108:109], v[26:27]
	v_fma_f64 v[30:31], v[104:105], v[66:67], v[30:31]
	s_delay_alu instid0(VALU_DEP_2) | instskip(NEXT) | instid1(VALU_DEP_2)
	v_fma_f64 v[26:27], v[28:29], v[110:111], v[26:27]
	v_fma_f64 v[30:31], v[28:29], v[68:69], v[30:31]
	;; [unrolled: 3-line block ×3, first 2 shown]
	v_mul_f64_e32 v[26:27], v[102:103], v[204:205]
	v_mul_f64_e32 v[30:31], v[102:103], v[2:3]
	scratch_store_b128 off, v[10:13], off offset:1336 ; 16-byte Folded Spill
	v_fma_f64 v[26:27], v[104:105], v[190:191], v[26:27]
	v_fma_f64 v[30:31], v[104:105], v[248:249], v[30:31]
	s_delay_alu instid0(VALU_DEP_2) | instskip(NEXT) | instid1(VALU_DEP_2)
	v_fma_f64 v[26:27], v[28:29], v[188:189], v[26:27]
	v_fma_f64 v[30:31], v[28:29], v[88:89], v[30:31]
	s_delay_alu instid0(VALU_DEP_2) | instskip(NEXT) | instid1(VALU_DEP_2)
	v_fma_f64 v[10:11], v[0:1], v[26:27], v[250:251]
	v_fma_f64 v[12:13], v[0:1], v[30:31], v[252:253]
	v_mul_f64_e32 v[26:27], v[102:103], v[212:213]
	v_mul_f64_e32 v[30:31], v[102:103], v[36:37]
	scratch_store_b128 off, v[10:13], off offset:1320 ; 16-byte Folded Spill
	v_fma_f64 v[26:27], v[104:105], v[78:79], v[26:27]
	v_fma_f64 v[30:31], v[104:105], v[18:19], v[30:31]
	s_delay_alu instid0(VALU_DEP_2) | instskip(NEXT) | instid1(VALU_DEP_2)
	v_fma_f64 v[26:27], v[28:29], v[214:215], v[26:27]
	v_fma_f64 v[30:31], v[28:29], v[58:59], v[30:31]
	s_delay_alu instid0(VALU_DEP_2) | instskip(NEXT) | instid1(VALU_DEP_2)
	v_fma_f64 v[10:11], v[0:1], v[26:27], v[228:229]
	v_fma_f64 v[12:13], v[0:1], v[30:31], v[230:231]
	;; [unrolled: 11-line block ×3, first 2 shown]
	scratch_load_b128 v[26:29], off, off offset:1184 th:TH_LOAD_LU ; 16-byte Folded Reload
	scratch_store_b128 off, v[10:13], off offset:1272 ; 16-byte Folded Spill
	v_mul_f64_e32 v[10:11], v[246:247], v[106:107]
	v_mul_f64_e32 v[12:13], v[246:247], v[70:71]
	s_delay_alu instid0(VALU_DEP_2) | instskip(NEXT) | instid1(VALU_DEP_2)
	v_fma_f64 v[10:11], v[242:243], v[108:109], v[10:11]
	v_fma_f64 v[12:13], v[242:243], v[66:67], v[12:13]
	s_delay_alu instid0(VALU_DEP_2) | instskip(NEXT) | instid1(VALU_DEP_2)
	v_fma_f64 v[10:11], v[244:245], v[110:111], v[10:11]
	v_fma_f64 v[12:13], v[244:245], v[68:69], v[12:13]
	s_delay_alu instid0(VALU_DEP_2) | instskip(NEXT) | instid1(VALU_DEP_2)
	v_fma_f64 v[10:11], v[0:1], v[10:11], v[224:225]
	v_fma_f64 v[12:13], v[0:1], v[12:13], v[226:227]
	scratch_store_b128 off, v[10:13], off offset:1416 ; 16-byte Folded Spill
	v_mul_f64_e32 v[10:11], v[246:247], v[204:205]
	v_mul_f64_e32 v[12:13], v[246:247], v[2:3]
	s_delay_alu instid0(VALU_DEP_2) | instskip(NEXT) | instid1(VALU_DEP_2)
	v_fma_f64 v[10:11], v[242:243], v[190:191], v[10:11]
	v_fma_f64 v[12:13], v[242:243], v[248:249], v[12:13]
	s_delay_alu instid0(VALU_DEP_2) | instskip(NEXT) | instid1(VALU_DEP_2)
	v_fma_f64 v[10:11], v[244:245], v[188:189], v[10:11]
	v_fma_f64 v[12:13], v[244:245], v[88:89], v[12:13]
	s_delay_alu instid0(VALU_DEP_2) | instskip(NEXT) | instid1(VALU_DEP_2)
	v_fma_f64 v[10:11], v[0:1], v[10:11], v[176:177]
	v_fma_f64 v[12:13], v[0:1], v[12:13], v[178:179]
	;; [unrolled: 12-line block ×5, first 2 shown]
	v_mul_f64_e32 v[10:11], v[106:107], v[204:205]
	v_mul_f64_e32 v[12:13], v[106:107], v[2:3]
	s_delay_alu instid0(VALU_DEP_2) | instskip(NEXT) | instid1(VALU_DEP_2)
	v_fma_f64 v[10:11], v[108:109], v[190:191], v[10:11]
	v_fma_f64 v[12:13], v[108:109], v[248:249], v[12:13]
	s_delay_alu instid0(VALU_DEP_2) | instskip(NEXT) | instid1(VALU_DEP_2)
	v_fma_f64 v[10:11], v[110:111], v[188:189], v[10:11]
	v_fma_f64 v[12:13], v[110:111], v[88:89], v[12:13]
	;; [unrolled: 3-line block ×3, first 2 shown]
	v_mul_f64_e32 v[10:11], v[106:107], v[212:213]
	v_mul_f64_e32 v[12:13], v[106:107], v[36:37]
	v_dual_mov_b32 v156, v162 :: v_dual_mov_b32 v157, v163
	v_dual_mov_b32 v158, v46 :: v_dual_mov_b32 v159, v47
	s_delay_alu instid0(VALU_DEP_4) | instskip(NEXT) | instid1(VALU_DEP_4)
	v_fma_f64 v[10:11], v[108:109], v[78:79], v[10:11]
	v_fma_f64 v[12:13], v[108:109], v[18:19], v[12:13]
	s_delay_alu instid0(VALU_DEP_2) | instskip(NEXT) | instid1(VALU_DEP_2)
	v_fma_f64 v[10:11], v[110:111], v[214:215], v[10:11]
	v_fma_f64 v[12:13], v[110:111], v[58:59], v[12:13]
	s_delay_alu instid0(VALU_DEP_2) | instskip(NEXT) | instid1(VALU_DEP_2)
	v_fma_f64 v[10:11], v[0:1], v[10:11], v[164:165]
	v_fma_f64 v[12:13], v[0:1], v[12:13], v[166:167]
	scratch_store_b128 off, v[10:13], off offset:1448 ; 16-byte Folded Spill
	v_mul_f64_e32 v[10:11], v[106:107], v[74:75]
	v_mul_f64_e32 v[12:13], v[106:107], v[4:5]
	s_delay_alu instid0(VALU_DEP_2) | instskip(NEXT) | instid1(VALU_DEP_2)
	v_fma_f64 v[10:11], v[108:109], v[72:73], v[10:11]
	v_fma_f64 v[12:13], v[108:109], v[8:9], v[12:13]
	s_delay_alu instid0(VALU_DEP_2) | instskip(NEXT) | instid1(VALU_DEP_2)
	v_fma_f64 v[10:11], v[110:111], v[76:77], v[10:11]
	v_fma_f64 v[12:13], v[110:111], v[84:85], v[12:13]
	;; [unrolled: 3-line block ×3, first 2 shown]
	scratch_store_b128 off, v[10:13], off offset:1432 ; 16-byte Folded Spill
	v_mul_f64_e32 v[10:11], v[70:71], v[204:205]
	v_mul_f64_e32 v[12:13], v[70:71], v[2:3]
	s_delay_alu instid0(VALU_DEP_2) | instskip(NEXT) | instid1(VALU_DEP_2)
	v_fma_f64 v[10:11], v[66:67], v[190:191], v[10:11]
	v_fma_f64 v[12:13], v[66:67], v[248:249], v[12:13]
	s_delay_alu instid0(VALU_DEP_2) | instskip(NEXT) | instid1(VALU_DEP_2)
	v_fma_f64 v[10:11], v[68:69], v[188:189], v[10:11]
	v_fma_f64 v[12:13], v[68:69], v[88:89], v[12:13]
	s_delay_alu instid0(VALU_DEP_2) | instskip(NEXT) | instid1(VALU_DEP_2)
	v_fma_f64 v[164:165], v[0:1], v[10:11], v[152:153]
	v_fma_f64 v[166:167], v[0:1], v[12:13], v[154:155]
	v_mul_f64_e32 v[10:11], v[70:71], v[212:213]
	v_mul_f64_e32 v[12:13], v[70:71], v[36:37]
	s_delay_alu instid0(VALU_DEP_2) | instskip(NEXT) | instid1(VALU_DEP_2)
	v_fma_f64 v[10:11], v[66:67], v[78:79], v[10:11]
	v_fma_f64 v[12:13], v[66:67], v[18:19], v[12:13]
	s_delay_alu instid0(VALU_DEP_2) | instskip(NEXT) | instid1(VALU_DEP_2)
	v_fma_f64 v[10:11], v[68:69], v[214:215], v[10:11]
	v_fma_f64 v[12:13], v[68:69], v[58:59], v[12:13]
	s_delay_alu instid0(VALU_DEP_2) | instskip(NEXT) | instid1(VALU_DEP_2)
	v_fma_f64 v[216:217], v[0:1], v[10:11], v[196:197]
	v_fma_f64 v[218:219], v[0:1], v[12:13], v[198:199]
	;; [unrolled: 11-line block ×3, first 2 shown]
	v_mul_f64_e32 v[10:11], v[204:205], v[204:205]
	v_mul_f64_e32 v[12:13], v[204:205], v[2:3]
	s_delay_alu instid0(VALU_DEP_2) | instskip(NEXT) | instid1(VALU_DEP_2)
	v_fma_f64 v[10:11], v[190:191], v[190:191], v[10:11]
	v_fma_f64 v[12:13], v[190:191], v[248:249], v[12:13]
	s_delay_alu instid0(VALU_DEP_2) | instskip(NEXT) | instid1(VALU_DEP_2)
	v_fma_f64 v[10:11], v[188:189], v[188:189], v[10:11]
	v_fma_f64 v[12:13], v[188:189], v[88:89], v[12:13]
	s_wait_loadcnt 0x0
	s_delay_alu instid0(VALU_DEP_2) | instskip(NEXT) | instid1(VALU_DEP_2)
	v_fma_f64 v[104:105], v[0:1], v[10:11], v[26:27]
	v_fma_f64 v[106:107], v[0:1], v[12:13], v[28:29]
	v_mul_f64_e32 v[10:11], v[204:205], v[212:213]
	v_mul_f64_e32 v[12:13], v[204:205], v[36:37]
	scratch_load_b128 v[26:29], off, off offset:1168 th:TH_LOAD_LU ; 16-byte Folded Reload
	v_fma_f64 v[10:11], v[190:191], v[78:79], v[10:11]
	v_fma_f64 v[12:13], v[190:191], v[18:19], v[12:13]
	s_delay_alu instid0(VALU_DEP_2) | instskip(NEXT) | instid1(VALU_DEP_2)
	v_fma_f64 v[10:11], v[188:189], v[214:215], v[10:11]
	v_fma_f64 v[12:13], v[188:189], v[58:59], v[12:13]
	s_delay_alu instid0(VALU_DEP_2) | instskip(NEXT) | instid1(VALU_DEP_2)
	v_fma_f64 v[10:11], v[0:1], v[10:11], v[184:185]
	v_fma_f64 v[12:13], v[0:1], v[12:13], v[186:187]
	scratch_store_b128 off, v[10:13], off offset:1512 ; 16-byte Folded Spill
	v_mul_f64_e32 v[10:11], v[204:205], v[74:75]
	v_mul_f64_e32 v[12:13], v[204:205], v[4:5]
	s_delay_alu instid0(VALU_DEP_2) | instskip(NEXT) | instid1(VALU_DEP_2)
	v_fma_f64 v[10:11], v[190:191], v[72:73], v[10:11]
	v_fma_f64 v[12:13], v[190:191], v[8:9], v[12:13]
	s_delay_alu instid0(VALU_DEP_2) | instskip(NEXT) | instid1(VALU_DEP_2)
	v_fma_f64 v[10:11], v[188:189], v[76:77], v[10:11]
	v_fma_f64 v[12:13], v[188:189], v[84:85], v[12:13]
	;; [unrolled: 3-line block ×3, first 2 shown]
	scratch_store_b128 off, v[10:13], off offset:1496 ; 16-byte Folded Spill
	v_mul_f64_e32 v[10:11], v[2:3], v[212:213]
	v_mul_f64_e32 v[12:13], v[2:3], v[36:37]
	s_delay_alu instid0(VALU_DEP_2) | instskip(NEXT) | instid1(VALU_DEP_2)
	v_fma_f64 v[10:11], v[248:249], v[78:79], v[10:11]
	v_fma_f64 v[12:13], v[248:249], v[18:19], v[12:13]
	s_delay_alu instid0(VALU_DEP_2) | instskip(NEXT) | instid1(VALU_DEP_2)
	v_fma_f64 v[10:11], v[88:89], v[214:215], v[10:11]
	v_fma_f64 v[12:13], v[88:89], v[58:59], v[12:13]
	;; [unrolled: 3-line block ×3, first 2 shown]
	v_mul_f64_e32 v[10:11], v[2:3], v[74:75]
	v_mul_f64_e32 v[12:13], v[2:3], v[4:5]
	;; [unrolled: 1-line block ×3, first 2 shown]
	s_delay_alu instid0(VALU_DEP_3) | instskip(NEXT) | instid1(VALU_DEP_3)
	v_fma_f64 v[10:11], v[248:249], v[72:73], v[10:11]
	v_fma_f64 v[12:13], v[248:249], v[8:9], v[12:13]
	s_delay_alu instid0(VALU_DEP_3) | instskip(NEXT) | instid1(VALU_DEP_3)
	v_fma_f64 v[2:3], v[248:249], v[248:249], v[2:3]
	v_fma_f64 v[10:11], v[88:89], v[76:77], v[10:11]
	;; [unrolled: 3-line block ×4, first 2 shown]
	v_mul_f64_e32 v[10:11], v[212:213], v[212:213]
	v_mul_f64_e32 v[12:13], v[212:213], v[36:37]
	v_fma_f64 v[248:249], v[0:1], v[2:3], v[6:7]
	s_delay_alu instid0(VALU_DEP_3) | instskip(NEXT) | instid1(VALU_DEP_3)
	v_fma_f64 v[10:11], v[78:79], v[78:79], v[10:11]
	v_fma_f64 v[12:13], v[78:79], v[18:19], v[12:13]
	s_delay_alu instid0(VALU_DEP_2) | instskip(NEXT) | instid1(VALU_DEP_2)
	v_fma_f64 v[10:11], v[214:215], v[214:215], v[10:11]
	v_fma_f64 v[12:13], v[214:215], v[58:59], v[12:13]
	s_wait_loadcnt 0x0
	s_delay_alu instid0(VALU_DEP_2) | instskip(NEXT) | instid1(VALU_DEP_2)
	v_fma_f64 v[40:41], v[0:1], v[10:11], v[26:27]
	v_fma_f64 v[42:43], v[0:1], v[12:13], v[28:29]
	scratch_load_b128 v[26:29], off, off offset:1200 th:TH_LOAD_LU ; 16-byte Folded Reload
	v_mul_f64_e32 v[10:11], v[212:213], v[74:75]
	v_mul_f64_e32 v[12:13], v[212:213], v[4:5]
	s_delay_alu instid0(VALU_DEP_2) | instskip(NEXT) | instid1(VALU_DEP_2)
	v_fma_f64 v[10:11], v[78:79], v[72:73], v[10:11]
	v_fma_f64 v[12:13], v[78:79], v[8:9], v[12:13]
	s_delay_alu instid0(VALU_DEP_2) | instskip(NEXT) | instid1(VALU_DEP_2)
	v_fma_f64 v[10:11], v[214:215], v[76:77], v[10:11]
	v_fma_f64 v[12:13], v[214:215], v[84:85], v[12:13]
	s_wait_loadcnt 0x0
	s_delay_alu instid0(VALU_DEP_2) | instskip(NEXT) | instid1(VALU_DEP_2)
	v_fma_f64 v[100:101], v[0:1], v[10:11], v[26:27]
	v_fma_f64 v[102:103], v[0:1], v[12:13], v[28:29]
	scratch_load_b128 v[26:29], off, off offset:1152 th:TH_LOAD_LU ; 16-byte Folded Reload
	v_mul_f64_e32 v[10:11], v[36:37], v[74:75]
	v_mul_f64_e32 v[12:13], v[36:37], v[4:5]
	s_delay_alu instid0(VALU_DEP_2) | instskip(NEXT) | instid1(VALU_DEP_2)
	v_fma_f64 v[10:11], v[18:19], v[72:73], v[10:11]
	v_fma_f64 v[12:13], v[18:19], v[8:9], v[12:13]
	s_delay_alu instid0(VALU_DEP_2) | instskip(NEXT) | instid1(VALU_DEP_2)
	v_fma_f64 v[10:11], v[58:59], v[76:77], v[10:11]
	v_fma_f64 v[12:13], v[58:59], v[84:85], v[12:13]
	s_delay_alu instid0(VALU_DEP_2) | instskip(SKIP_1) | instid1(VALU_DEP_3)
	v_fma_f64 v[152:153], v[0:1], v[10:11], v[136:137]
	v_mul_f64_e32 v[10:11], v[74:75], v[74:75]
	v_fma_f64 v[154:155], v[0:1], v[12:13], v[138:139]
	v_mul_f64_e32 v[12:13], v[74:75], v[4:5]
	s_delay_alu instid0(VALU_DEP_3) | instskip(NEXT) | instid1(VALU_DEP_2)
	v_fma_f64 v[10:11], v[72:73], v[72:73], v[10:11]
	v_fma_f64 v[12:13], v[72:73], v[8:9], v[12:13]
	s_delay_alu instid0(VALU_DEP_2) | instskip(NEXT) | instid1(VALU_DEP_2)
	v_fma_f64 v[10:11], v[76:77], v[76:77], v[10:11]
	v_fma_f64 v[12:13], v[76:77], v[84:85], v[12:13]
	s_wait_loadcnt 0x0
	s_delay_alu instid0(VALU_DEP_2) | instskip(SKIP_1) | instid1(VALU_DEP_3)
	v_fma_f64 v[114:115], v[0:1], v[10:11], v[26:27]
	v_add_f64_e64 v[10:11], |v[62:63]|, s[2:3]
	v_fma_f64 v[116:117], v[0:1], v[12:13], v[28:29]
	s_delay_alu instid0(VALU_DEP_2) | instskip(NEXT) | instid1(VALU_DEP_1)
	v_div_scale_f64 v[12:13], null, v[10:11], v[10:11], 1.0
	v_rcp_f64_e32 v[26:27], v[12:13]
	s_delay_alu instid0(TRANS32_DEP_1) | instskip(NEXT) | instid1(VALU_DEP_1)
	v_fma_f64 v[28:29], -v[12:13], v[26:27], 1.0
	v_fma_f64 v[26:27], v[26:27], v[28:29], v[26:27]
	s_delay_alu instid0(VALU_DEP_1) | instskip(NEXT) | instid1(VALU_DEP_1)
	v_fma_f64 v[28:29], -v[12:13], v[26:27], 1.0
	v_fma_f64 v[26:27], v[26:27], v[28:29], v[26:27]
	v_div_scale_f64 v[28:29], vcc_lo, 1.0, v[10:11], 1.0
	s_delay_alu instid0(VALU_DEP_1) | instskip(NEXT) | instid1(VALU_DEP_1)
	v_mul_f64_e32 v[30:31], v[28:29], v[26:27]
	v_fma_f64 v[12:13], -v[12:13], v[30:31], v[28:29]
	s_wait_alu 0xfffd
	s_delay_alu instid0(VALU_DEP_1) | instskip(NEXT) | instid1(VALU_DEP_1)
	v_div_fmas_f64 v[12:13], v[12:13], v[26:27], v[30:31]
	v_div_fixup_f64 v[10:11], v[12:13], v[10:11], 1.0
	v_mul_f64_e32 v[12:13], v[64:65], v[64:65]
	s_delay_alu instid0(VALU_DEP_2)
	v_mul_f64_e32 v[180:181], v[60:61], v[10:11]
	v_mul_f64_e32 v[184:185], v[56:57], v[10:11]
	;; [unrolled: 1-line block ×9, first 2 shown]
	v_fma_f64 v[12:13], v[20:21], v[20:21], v[12:13]
	v_mul_f64_e32 v[60:61], 0, v[180:181]
	v_mul_f64_e32 v[82:83], 0, v[184:185]
	;; [unrolled: 1-line block ×6, first 2 shown]
	v_fma_f64 v[12:13], v[22:23], v[22:23], v[12:13]
	v_fma_f64 v[10:11], v[184:185], -v[148:149], v[60:61]
	s_delay_alu instid0(VALU_DEP_2) | instskip(NEXT) | instid1(VALU_DEP_2)
	v_fma_f64 v[20:21], v[0:1], v[12:13], v[150:151]
	v_fma_f64 v[62:63], v[16:17], v[28:29], v[10:11]
	v_fma_f64 v[10:11], v[182:183], -v[148:149], v[186:187]
	s_delay_alu instid0(VALU_DEP_1) | instskip(SKIP_1) | instid1(VALU_DEP_1)
	v_fma_f64 v[50:51], v[16:17], v[26:27], v[10:11]
	v_fma_f64 v[10:11], v[34:35], -v[148:149], v[192:193]
	v_fma_f64 v[48:49], v[16:17], v[24:25], v[10:11]
	v_fma_f64 v[10:11], v[184:185], -s[10:11], v[60:61]
	s_delay_alu instid0(VALU_DEP_1) | instskip(SKIP_1) | instid1(VALU_DEP_1)
	v_fma_f64 v[188:189], -v[28:29], v[16:17], v[10:11]
	v_fma_f64 v[10:11], v[182:183], -s[10:11], v[186:187]
	v_fma_f64 v[240:241], -v[26:27], v[16:17], v[10:11]
	v_fma_f64 v[10:11], v[34:35], -s[10:11], v[192:193]
	s_delay_alu instid0(VALU_DEP_2) | instskip(NEXT) | instid1(VALU_DEP_2)
	v_mul_f64_e32 v[12:13], v[50:51], v[240:241]
	v_fma_f64 v[76:77], -v[24:25], v[16:17], v[10:11]
	v_mul_f64_e32 v[10:11], v[50:51], v[50:51]
	s_delay_alu instid0(VALU_DEP_3) | instskip(NEXT) | instid1(VALU_DEP_2)
	v_fma_f64 v[12:13], v[62:63], v[188:189], v[12:13]
	v_fma_f64 v[10:11], v[62:63], v[62:63], v[10:11]
	s_delay_alu instid0(VALU_DEP_2) | instskip(NEXT) | instid1(VALU_DEP_2)
	v_fma_f64 v[12:13], v[48:49], v[76:77], v[12:13]
	v_fma_f64 v[10:11], v[48:49], v[48:49], v[10:11]
	s_delay_alu instid0(VALU_DEP_2) | instskip(NEXT) | instid1(VALU_DEP_2)
	v_fma_f64 v[12:13], v[0:1], v[12:13], v[222:223]
	v_fma_f64 v[10:11], v[0:1], v[10:11], v[220:221]
	s_clause 0x1
	scratch_store_b128 off, v[10:13], off offset:1528
	scratch_store_b128 off, v[220:223], off
	v_dual_mov_b32 v12, v20 :: v_dual_mov_b32 v13, v21
	v_dual_mov_b32 v10, v222 :: v_dual_mov_b32 v11, v223
	scratch_store_b128 off, v[10:13], off offset:1544 ; 16-byte Folded Spill
	v_fma_f64 v[10:11], v[118:119], v[180:181], v[82:83]
	s_delay_alu instid0(VALU_DEP_1) | instskip(SKIP_1) | instid1(VALU_DEP_1)
	v_fma_f64 v[96:97], v[28:29], -v[16:17], v[10:11]
	v_fma_f64 v[10:11], v[118:119], v[32:33], v[120:121]
	v_fma_f64 v[130:131], v[26:27], -v[16:17], v[10:11]
	v_fma_f64 v[10:11], v[118:119], v[30:31], v[56:57]
	s_delay_alu instid0(VALU_DEP_1) | instskip(SKIP_1) | instid1(VALU_DEP_1)
	v_fma_f64 v[98:99], v[24:25], -v[16:17], v[10:11]
	v_fma_f64 v[10:11], s[8:9], v[180:181], v[82:83]
	v_fma_f64 v[72:73], v[16:17], v[28:29], v[10:11]
	;; [unrolled: 1-line block ×3, first 2 shown]
	s_delay_alu instid0(VALU_DEP_1) | instskip(SKIP_1) | instid1(VALU_DEP_2)
	v_fma_f64 v[14:15], v[16:17], v[26:27], v[10:11]
	v_fma_f64 v[10:11], s[8:9], v[30:31], v[56:57]
	v_mul_f64_e32 v[12:13], v[130:131], v[14:15]
	s_delay_alu instid0(VALU_DEP_2) | instskip(SKIP_1) | instid1(VALU_DEP_3)
	v_fma_f64 v[150:151], v[16:17], v[24:25], v[10:11]
	v_mul_f64_e32 v[10:11], v[70:71], v[70:71]
	v_fma_f64 v[12:13], v[96:97], v[72:73], v[12:13]
	s_delay_alu instid0(VALU_DEP_2) | instskip(NEXT) | instid1(VALU_DEP_2)
	v_fma_f64 v[10:11], v[66:67], v[66:67], v[10:11]
	v_fma_f64 v[12:13], v[98:99], v[150:151], v[12:13]
	s_delay_alu instid0(VALU_DEP_2) | instskip(NEXT) | instid1(VALU_DEP_2)
	v_fma_f64 v[10:11], v[68:69], v[68:69], v[10:11]
	v_fma_f64 v[12:13], v[0:1], v[12:13], v[170:171]
	s_delay_alu instid0(VALU_DEP_2) | instskip(SKIP_1) | instid1(VALU_DEP_1)
	v_fma_f64 v[16:17], v[0:1], v[10:11], v[112:113]
	v_mul_f64_e32 v[10:11], v[130:131], v[130:131]
	v_fma_f64 v[10:11], v[96:97], v[96:97], v[10:11]
	s_delay_alu instid0(VALU_DEP_1) | instskip(NEXT) | instid1(VALU_DEP_1)
	v_fma_f64 v[10:11], v[98:99], v[98:99], v[10:11]
	v_fma_f64 v[10:11], v[0:1], v[10:11], v[168:169]
	s_clause 0x1
	scratch_store_b128 off, v[10:13], off offset:1576
	scratch_store_b128 off, v[168:171], off offset:416
	v_dual_mov_b32 v12, v16 :: v_dual_mov_b32 v13, v17
	v_dual_mov_b32 v10, v170 :: v_dual_mov_b32 v11, v171
	v_mul_f64_e32 v[16:17], v[148:149], v[34:35]
	scratch_store_b128 off, v[10:13], off offset:1560 ; 16-byte Folded Spill
	v_mul_f64_e32 v[10:11], v[36:37], v[36:37]
	v_mul_f64_e32 v[12:13], v[148:149], v[182:183]
	s_delay_alu instid0(VALU_DEP_2) | instskip(SKIP_2) | instid1(VALU_DEP_4)
	v_fma_f64 v[10:11], v[18:19], v[18:19], v[10:11]
	v_fma_f64 v[18:19], v[30:31], -v[118:119], v[16:17]
	v_mul_f64_e64 v[16:17], v[184:185], -v[148:149]
	v_fma_f64 v[12:13], v[32:33], -v[118:119], v[12:13]
	s_delay_alu instid0(VALU_DEP_4) | instskip(NEXT) | instid1(VALU_DEP_4)
	v_fma_f64 v[10:11], v[58:59], v[58:59], v[10:11]
	v_fma_f64 v[64:65], v[24:25], 0, v[18:19]
	s_delay_alu instid0(VALU_DEP_4)
	v_fma_f64 v[20:21], v[180:181], -s[8:9], v[16:17]
	v_mul_f64_e64 v[16:17], v[182:183], -v[148:149]
	v_fma_f64 v[18:19], v[148:149], v[182:183], v[186:187]
	v_fma_f64 v[58:59], v[0:1], v[10:11], v[90:91]
	v_mul_f64_e32 v[10:11], v[148:149], v[184:185]
	v_fma_f64 v[38:39], v[28:29], 0, v[20:21]
	v_fma_f64 v[22:23], v[32:33], -s[8:9], v[16:17]
	v_mul_f64_e64 v[16:17], v[34:35], -v[148:149]
	v_fma_f64 v[74:75], s[12:13], v[26:27], v[18:19]
	v_fma_f64 v[10:11], v[180:181], -v[118:119], v[10:11]
	s_delay_alu instid0(VALU_DEP_4) | instskip(NEXT) | instid1(VALU_DEP_4)
	v_fma_f64 v[210:211], v[26:27], 0, v[22:23]
	v_fma_f64 v[36:37], v[30:31], -s[8:9], v[16:17]
	v_fma_f64 v[16:17], v[26:27], 0, v[12:13]
	v_fma_f64 v[22:23], s[10:11], v[182:183], v[186:187]
	;; [unrolled: 1-line block ×3, first 2 shown]
	s_delay_alu instid0(VALU_DEP_4) | instskip(NEXT) | instid1(VALU_DEP_4)
	v_fma_f64 v[112:113], v[24:25], 0, v[36:37]
	v_mul_f64_e32 v[10:11], v[16:17], v[16:17]
	v_mul_f64_e32 v[12:13], v[16:17], v[210:211]
	v_fma_f64 v[22:23], -v[26:27], s[12:13], v[22:23]
	v_fma_f64 v[36:37], v[148:149], v[34:35], v[192:193]
	s_delay_alu instid0(VALU_DEP_4) | instskip(NEXT) | instid1(VALU_DEP_4)
	v_fma_f64 v[10:11], v[66:67], v[66:67], v[10:11]
	v_fma_f64 v[12:13], v[66:67], v[38:39], v[12:13]
	s_delay_alu instid0(VALU_DEP_3) | instskip(SKIP_1) | instid1(VALU_DEP_4)
	v_fma_f64 v[70:71], s[12:13], v[24:25], v[36:37]
	v_fma_f64 v[36:37], -v[32:33], v[118:119], v[120:121]
	v_fma_f64 v[10:11], v[64:65], v[64:65], v[10:11]
	s_delay_alu instid0(VALU_DEP_4) | instskip(NEXT) | instid1(VALU_DEP_3)
	v_fma_f64 v[12:13], v[64:65], v[112:113], v[12:13]
	v_fma_f64 v[36:37], v[26:27], -s[12:13], v[36:37]
	s_delay_alu instid0(VALU_DEP_3) | instskip(NEXT) | instid1(VALU_DEP_3)
	v_fma_f64 v[10:11], v[0:1], v[10:11], v[40:41]
	v_fma_f64 v[12:13], v[0:1], v[12:13], v[42:43]
	s_clause 0x1
	scratch_store_b128 off, v[10:13], off offset:1168
	scratch_store_b128 off, v[40:43], off offset:832
	v_dual_mov_b32 v12, v58 :: v_dual_mov_b32 v13, v59
	v_dual_mov_b32 v10, v42 :: v_dual_mov_b32 v11, v43
	v_fma_f64 v[40:41], s[10:11], v[34:35], v[192:193]
	v_fma_f64 v[42:43], -v[30:31], v[118:119], v[56:57]
	v_mul_f64_e32 v[2:3], v[36:37], v[36:37]
	v_dual_mov_b32 v58, v116 :: v_dual_mov_b32 v59, v117
	scratch_store_b128 off, v[10:13], off offset:1592 ; 16-byte Folded Spill
	v_fma_f64 v[10:11], v[148:149], v[184:185], v[60:61]
	v_fma_f64 v[12:13], s[10:11], v[184:185], v[60:61]
	v_fma_f64 v[18:19], -v[24:25], s[12:13], v[40:41]
	v_fma_f64 v[40:41], -v[32:33], s[8:9], v[120:121]
	v_fma_f64 v[124:125], v[24:25], -s[12:13], v[42:43]
	v_fma_f64 v[68:69], s[12:13], v[28:29], v[10:11]
	v_fma_f64 v[20:21], -v[28:29], s[12:13], v[12:13]
	v_mul_f64_e32 v[10:11], v[50:51], v[74:75]
	v_mul_f64_e32 v[12:13], v[50:51], v[22:23]
	v_fma_f64 v[126:127], s[12:13], v[26:27], v[40:41]
	s_delay_alu instid0(VALU_DEP_3) | instskip(NEXT) | instid1(VALU_DEP_3)
	v_fma_f64 v[10:11], v[62:63], v[68:69], v[10:11]
	v_fma_f64 v[12:13], v[62:63], v[20:21], v[12:13]
	s_delay_alu instid0(VALU_DEP_3) | instskip(NEXT) | instid1(VALU_DEP_3)
	v_mul_f64_e32 v[6:7], v[36:37], v[126:127]
	v_fma_f64 v[10:11], v[48:49], v[70:71], v[10:11]
	s_delay_alu instid0(VALU_DEP_3) | instskip(NEXT) | instid1(VALU_DEP_2)
	v_fma_f64 v[12:13], v[48:49], v[18:19], v[12:13]
	v_fma_f64 v[10:11], v[0:1], v[10:11], v[160:161]
	s_delay_alu instid0(VALU_DEP_2) | instskip(SKIP_3) | instid1(VALU_DEP_2)
	v_fma_f64 v[12:13], v[0:1], v[12:13], v[162:163]
	scratch_store_b128 off, v[10:13], off offset:1640 ; 16-byte Folded Spill
	v_mul_f64_e32 v[10:11], v[240:241], v[74:75]
	v_mul_f64_e32 v[12:13], v[240:241], v[22:23]
	v_fma_f64 v[10:11], v[188:189], v[68:69], v[10:11]
	s_delay_alu instid0(VALU_DEP_2) | instskip(NEXT) | instid1(VALU_DEP_2)
	v_fma_f64 v[12:13], v[188:189], v[20:21], v[12:13]
	v_fma_f64 v[10:11], v[76:77], v[70:71], v[10:11]
	s_delay_alu instid0(VALU_DEP_2) | instskip(NEXT) | instid1(VALU_DEP_2)
	v_fma_f64 v[12:13], v[76:77], v[18:19], v[12:13]
	v_fma_f64 v[10:11], v[0:1], v[10:11], v[44:45]
	s_delay_alu instid0(VALU_DEP_2)
	v_fma_f64 v[12:13], v[0:1], v[12:13], v[46:47]
	s_clause 0x1
	scratch_store_b128 off, v[10:13], off offset:1608
	scratch_store_b128 off, v[160:163], off offset:16
	v_mul_f64_e32 v[10:11], v[246:247], v[246:247]
	v_mul_f64_e32 v[12:13], v[74:75], v[22:23]
	v_dual_mov_b32 v162, v44 :: v_dual_mov_b32 v163, v45
	s_clause 0x1
	scratch_store_b128 off, v[44:47], off offset:112
	scratch_store_b128 off, v[200:203], off offset:208
	v_fma_f64 v[44:45], -v[30:31], s[8:9], v[56:57]
	v_dual_mov_b32 v246, v106 :: v_dual_mov_b32 v247, v107
	v_fma_f64 v[10:11], v[242:243], v[242:243], v[10:11]
	v_fma_f64 v[12:13], v[68:69], v[20:21], v[12:13]
	v_dual_mov_b32 v242, v202 :: v_dual_mov_b32 v243, v203
	v_fma_f64 v[128:129], s[12:13], v[24:25], v[44:45]
	s_delay_alu instid0(VALU_DEP_4) | instskip(NEXT) | instid1(VALU_DEP_4)
	v_fma_f64 v[10:11], v[244:245], v[244:245], v[10:11]
	v_fma_f64 v[12:13], v[70:71], v[18:19], v[12:13]
	s_delay_alu instid0(VALU_DEP_2) | instskip(SKIP_1) | instid1(VALU_DEP_3)
	v_fma_f64 v[244:245], v[0:1], v[10:11], v[86:87]
	v_mul_f64_e32 v[10:11], v[74:75], v[74:75]
	v_fma_f64 v[12:13], v[0:1], v[12:13], v[202:203]
	s_delay_alu instid0(VALU_DEP_2) | instskip(NEXT) | instid1(VALU_DEP_1)
	v_fma_f64 v[10:11], v[68:69], v[68:69], v[10:11]
	v_fma_f64 v[10:11], v[70:71], v[70:71], v[10:11]
	s_delay_alu instid0(VALU_DEP_1)
	v_fma_f64 v[10:11], v[0:1], v[10:11], v[200:201]
	scratch_store_b128 off, v[160:163], off offset:1624 ; 16-byte Folded Spill
	v_dual_mov_b32 v160, v178 :: v_dual_mov_b32 v161, v179
	v_dual_mov_b32 v162, v166 :: v_dual_mov_b32 v163, v167
	scratch_store_b128 off, v[10:13], off offset:1672 ; 16-byte Folded Spill
	v_fma_f64 v[10:11], -v[180:181], v[118:119], v[82:83]
	v_fma_f64 v[12:13], -v[180:181], s[8:9], v[82:83]
	v_dual_mov_b32 v82, v118 :: v_dual_mov_b32 v83, v119
	s_delay_alu instid0(VALU_DEP_3) | instskip(NEXT) | instid1(VALU_DEP_3)
	v_fma_f64 v[122:123], v[28:29], -s[12:13], v[10:11]
	v_fma_f64 v[56:57], s[12:13], v[28:29], v[12:13]
	v_mul_f64_e32 v[10:11], v[130:131], v[36:37]
	v_mul_f64_e32 v[12:13], v[130:131], v[126:127]
	s_mov_b64 s[12:13], s[6:7]
	s_delay_alu instid0(VALU_DEP_4) | instskip(NEXT) | instid1(VALU_DEP_4)
	v_fma_f64 v[2:3], v[122:123], v[122:123], v[2:3]
	v_fma_f64 v[6:7], v[122:123], v[56:57], v[6:7]
	s_delay_alu instid0(VALU_DEP_4) | instskip(NEXT) | instid1(VALU_DEP_4)
	v_fma_f64 v[10:11], v[96:97], v[122:123], v[10:11]
	v_fma_f64 v[12:13], v[96:97], v[56:57], v[12:13]
	;; [unrolled: 3-line block ×4, first 2 shown]
	s_delay_alu instid0(VALU_DEP_2) | instskip(NEXT) | instid1(VALU_DEP_2)
	v_fma_f64 v[10:11], v[0:1], v[10:11], v[176:177]
	v_fma_f64 v[12:13], v[0:1], v[12:13], v[178:179]
	scratch_store_b128 off, v[10:13], off offset:1704 ; 16-byte Folded Spill
	v_mul_f64_e32 v[10:11], v[14:15], v[36:37]
	v_mul_f64_e32 v[12:13], v[14:15], v[126:127]
	s_delay_alu instid0(VALU_DEP_2) | instskip(NEXT) | instid1(VALU_DEP_2)
	v_fma_f64 v[10:11], v[72:73], v[122:123], v[10:11]
	v_fma_f64 v[12:13], v[72:73], v[56:57], v[12:13]
	s_delay_alu instid0(VALU_DEP_2) | instskip(NEXT) | instid1(VALU_DEP_2)
	v_fma_f64 v[10:11], v[150:151], v[124:125], v[10:11]
	v_fma_f64 v[12:13], v[150:151], v[128:129], v[12:13]
	;; [unrolled: 3-line block ×3, first 2 shown]
	s_clause 0x1
	scratch_store_b128 off, v[10:13], off offset:1656
	scratch_store_b128 off, v[176:179], off offset:432
	v_fma_f64 v[10:11], v[0:1], v[2:3], v[104:105]
	v_fma_f64 v[12:13], v[0:1], v[6:7], v[106:107]
	v_dual_mov_b32 v178, v164 :: v_dual_mov_b32 v179, v165
	v_mul_f64_e32 v[2:3], s[10:11], v[184:185]
	v_mul_f64_e64 v[6:7], v[184:185], -s[10:11]
	s_clause 0x2
	scratch_store_b128 off, v[164:167], off offset:528
	scratch_store_b128 off, v[104:107], off offset:624
	;; [unrolled: 1-line block ×3, first 2 shown]
	v_dual_mov_b32 v104, v102 :: v_dual_mov_b32 v105, v103
	v_dual_mov_b32 v106, v154 :: v_dual_mov_b32 v107, v155
	;; [unrolled: 1-line block ×3, first 2 shown]
	scratch_store_b128 off, v[10:13], off offset:1184 ; 16-byte Folded Spill
	v_mul_f64_e32 v[10:11], s[10:11], v[182:183]
	v_mul_f64_e64 v[12:13], v[182:183], -s[10:11]
	v_fma_f64 v[2:3], v[118:119], v[180:181], v[2:3]
	v_fma_f64 v[6:7], s[8:9], v[180:181], v[6:7]
	s_delay_alu instid0(VALU_DEP_4) | instskip(NEXT) | instid1(VALU_DEP_4)
	v_fma_f64 v[10:11], v[118:119], v[32:33], v[10:11]
	v_fma_f64 v[12:13], s[8:9], v[32:33], v[12:13]
	v_mul_f64_e32 v[32:33], s[10:11], v[34:35]
	v_mul_f64_e64 v[34:35], v[34:35], -s[10:11]
	v_fma_f64 v[250:251], v[28:29], 0, v[2:3]
	v_fma_f64 v[190:191], v[28:29], 0, v[6:7]
	v_mul_f64_e32 v[28:29], v[50:51], v[36:37]
	v_fma_f64 v[252:253], v[26:27], 0, v[10:11]
	v_fma_f64 v[254:255], v[26:27], 0, v[12:13]
	v_fma_f64 v[32:33], v[118:119], v[30:31], v[32:33]
	v_fma_f64 v[30:31], s[8:9], v[30:31], v[34:35]
	v_fma_f64 v[28:29], v[62:63], v[122:123], v[28:29]
	v_mul_f64_e32 v[2:3], v[16:17], v[252:253]
	v_mul_f64_e32 v[6:7], v[16:17], v[254:255]
	v_fma_f64 v[10:11], v[24:25], 0, v[32:33]
	v_fma_f64 v[12:13], v[24:25], 0, v[30:31]
	v_mul_f64_e32 v[30:31], v[50:51], v[126:127]
	v_fma_f64 v[28:29], v[48:49], v[124:125], v[28:29]
	v_fma_f64 v[2:3], v[66:67], v[250:251], v[2:3]
	;; [unrolled: 1-line block ×3, first 2 shown]
	s_delay_alu instid0(VALU_DEP_4) | instskip(NEXT) | instid1(VALU_DEP_3)
	v_fma_f64 v[30:31], v[62:63], v[56:57], v[30:31]
	v_fma_f64 v[2:3], v[64:65], v[10:11], v[2:3]
	s_delay_alu instid0(VALU_DEP_3) | instskip(NEXT) | instid1(VALU_DEP_3)
	v_fma_f64 v[6:7], v[64:65], v[12:13], v[6:7]
	v_fma_f64 v[30:31], v[48:49], v[128:129], v[30:31]
	s_delay_alu instid0(VALU_DEP_3) | instskip(NEXT) | instid1(VALU_DEP_3)
	v_fma_f64 v[24:25], v[0:1], v[2:3], v[100:101]
	v_fma_f64 v[26:27], v[0:1], v[6:7], v[102:103]
	v_mul_f64_e32 v[2:3], v[210:211], v[252:253]
	v_mul_f64_e32 v[6:7], v[210:211], v[254:255]
	scratch_store_b128 off, v[24:27], off offset:1200 ; 16-byte Folded Spill
	v_fma_f64 v[2:3], v[38:39], v[250:251], v[2:3]
	v_fma_f64 v[6:7], v[38:39], v[190:191], v[6:7]
	s_delay_alu instid0(VALU_DEP_2) | instskip(NEXT) | instid1(VALU_DEP_2)
	v_fma_f64 v[2:3], v[112:113], v[10:11], v[2:3]
	v_fma_f64 v[6:7], v[112:113], v[12:13], v[6:7]
	s_delay_alu instid0(VALU_DEP_2) | instskip(NEXT) | instid1(VALU_DEP_2)
	v_fma_f64 v[24:25], v[0:1], v[2:3], v[152:153]
	v_fma_f64 v[26:27], v[0:1], v[6:7], v[154:155]
	s_clause 0x1
	scratch_store_b128 off, v[24:27], off offset:1736
	scratch_store_b128 off, v[100:103], off offset:848
	scratch_load_b128 v[24:27], off, off offset:1224 th:TH_LOAD_LU ; 16-byte Folded Reload
	v_mul_f64_e32 v[2:3], v[4:5], v[4:5]
	v_mul_f64_e32 v[6:7], v[252:253], v[254:255]
	s_clause 0x1
	scratch_store_b128 off, v[152:155], off offset:944
	scratch_store_b128 off, v[114:117], off offset:1040
	v_dual_mov_b32 v102, v152 :: v_dual_mov_b32 v103, v153
	v_fma_f64 v[2:3], v[8:9], v[8:9], v[2:3]
	v_fma_f64 v[6:7], v[250:251], v[190:191], v[6:7]
	v_mul_f64_e32 v[8:9], v[50:51], v[14:15]
	s_delay_alu instid0(VALU_DEP_3) | instskip(NEXT) | instid1(VALU_DEP_3)
	v_fma_f64 v[2:3], v[84:85], v[84:85], v[2:3]
	v_fma_f64 v[6:7], v[10:11], v[12:13], v[6:7]
	s_delay_alu instid0(VALU_DEP_3) | instskip(NEXT) | instid1(VALU_DEP_3)
	v_fma_f64 v[8:9], v[62:63], v[72:73], v[8:9]
	v_fma_f64 v[60:61], v[0:1], v[2:3], v[134:135]
	v_mul_f64_e32 v[2:3], v[252:253], v[252:253]
	s_delay_alu instid0(VALU_DEP_4) | instskip(SKIP_2) | instid1(VALU_DEP_4)
	v_fma_f64 v[4:5], v[0:1], v[6:7], v[116:117]
	v_mul_f64_e32 v[6:7], v[50:51], v[130:131]
	v_fma_f64 v[8:9], v[48:49], v[150:151], v[8:9]
	v_fma_f64 v[2:3], v[250:251], v[250:251], v[2:3]
	s_delay_alu instid0(VALU_DEP_3) | instskip(NEXT) | instid1(VALU_DEP_2)
	v_fma_f64 v[6:7], v[62:63], v[96:97], v[6:7]
	v_fma_f64 v[2:3], v[10:11], v[10:11], v[2:3]
	s_delay_alu instid0(VALU_DEP_2) | instskip(NEXT) | instid1(VALU_DEP_2)
	v_fma_f64 v[6:7], v[48:49], v[98:99], v[6:7]
	v_fma_f64 v[2:3], v[0:1], v[2:3], v[114:115]
	scratch_store_b128 off, v[2:5], off offset:1152 ; 16-byte Folded Spill
	s_wait_loadcnt 0x0
	v_fma_f64 v[2:3], v[0:1], v[6:7], v[24:25]
	v_fma_f64 v[4:5], v[0:1], v[8:9], v[26:27]
	v_mul_f64_e32 v[6:7], v[240:241], v[130:131]
	v_mul_f64_e32 v[8:9], v[240:241], v[14:15]
	scratch_store_b128 off, v[2:5], off offset:1752 ; 16-byte Folded Spill
	v_fma_f64 v[6:7], v[188:189], v[96:97], v[6:7]
	v_fma_f64 v[8:9], v[188:189], v[72:73], v[8:9]
	s_delay_alu instid0(VALU_DEP_2) | instskip(NEXT) | instid1(VALU_DEP_2)
	v_fma_f64 v[6:7], v[76:77], v[98:99], v[6:7]
	v_fma_f64 v[8:9], v[76:77], v[150:151], v[8:9]
	s_delay_alu instid0(VALU_DEP_2) | instskip(NEXT) | instid1(VALU_DEP_2)
	v_fma_f64 v[2:3], v[0:1], v[6:7], v[52:53]
	v_fma_f64 v[4:5], v[0:1], v[8:9], v[54:55]
	s_clause 0x1
	scratch_store_b128 off, v[2:5], off offset:1720
	scratch_store_b128 off, v[24:27], off offset:32
	s_clause 0x1
	scratch_load_b128 v[40:43], off, off offset:1240 th:TH_LOAD_LU
	scratch_load_b128 v[32:35], off, off offset:1480 th:TH_LOAD_LU
	v_dual_mov_b32 v8, v54 :: v_dual_mov_b32 v9, v55
	v_dual_mov_b32 v6, v26 :: v_dual_mov_b32 v7, v27
	;; [unrolled: 1-line block ×3, first 2 shown]
	s_wait_loadcnt 0x1
	v_fma_f64 v[2:3], v[0:1], v[28:29], v[40:41]
	v_fma_f64 v[4:5], v[0:1], v[30:31], v[42:43]
	v_mul_f64_e32 v[28:29], v[240:241], v[36:37]
	v_mul_f64_e32 v[30:31], v[240:241], v[126:127]
	scratch_store_b128 off, v[52:55], off offset:128
	v_dual_mov_b32 v88, v42 :: v_dual_mov_b32 v89, v43
	s_wait_loadcnt 0x0
	v_dual_mov_b32 v90, v34 :: v_dual_mov_b32 v91, v35
	scratch_store_b128 off, v[2:5], off offset:1224 ; 16-byte Folded Spill
	v_fma_f64 v[28:29], v[188:189], v[122:123], v[28:29]
	v_fma_f64 v[30:31], v[188:189], v[56:57], v[30:31]
	s_delay_alu instid0(VALU_DEP_2) | instskip(NEXT) | instid1(VALU_DEP_2)
	v_fma_f64 v[28:29], v[76:77], v[124:125], v[28:29]
	v_fma_f64 v[30:31], v[76:77], v[128:129], v[30:31]
	s_delay_alu instid0(VALU_DEP_2) | instskip(NEXT) | instid1(VALU_DEP_2)
	v_fma_f64 v[2:3], v[0:1], v[28:29], v[32:33]
	v_fma_f64 v[4:5], v[0:1], v[30:31], v[34:35]
	s_clause 0x1
	scratch_store_b128 off, v[2:5], off offset:1768
	scratch_store_b128 off, v[40:43], off offset:48
	v_dual_mov_b32 v42, v32 :: v_dual_mov_b32 v43, v33
	s_clause 0x1
	scratch_load_b128 v[44:47], off, off offset:1352 th:TH_LOAD_LU
	scratch_load_b128 v[212:215], off, off offset:1336 th:TH_LOAD_LU
	scratch_store_b128 off, v[32:35], off offset:144
	scratch_load_b128 v[32:35], off, off offset:1464 th:TH_LOAD_LU ; 16-byte Folded Reload
	v_mul_f64_e32 v[28:29], v[50:51], v[16:17]
	v_mul_f64_e32 v[30:31], v[50:51], v[210:211]
	s_clause 0x1
	scratch_load_b128 v[132:135], off, off offset:1400 th:TH_LOAD_LU
	scratch_load_b128 v[152:155], off, off offset:1384 th:TH_LOAD_LU
	scratch_store_b128 off, v[216:219], off offset:544
	s_clause 0x1
	scratch_load_b128 v[114:117], off, off offset:1288 th:TH_LOAD_LU
	scratch_load_b128 v[146:149], off, off offset:1304 th:TH_LOAD_LU
	scratch_store_b128 off, v[108:111], off offset:736
	v_fma_f64 v[28:29], v[62:63], v[66:67], v[28:29]
	v_fma_f64 v[30:31], v[62:63], v[38:39], v[30:31]
	s_delay_alu instid0(VALU_DEP_2) | instskip(NEXT) | instid1(VALU_DEP_2)
	v_fma_f64 v[28:29], v[48:49], v[64:65], v[28:29]
	v_fma_f64 v[30:31], v[48:49], v[112:113], v[30:31]
	s_wait_loadcnt 0x6
	scratch_store_b128 off, v[44:47], off offset:160
	v_dual_mov_b32 v86, v46 :: v_dual_mov_b32 v87, v47
	s_wait_loadcnt 0x4
	v_fma_f64 v[2:3], v[0:1], v[28:29], v[32:33]
	v_fma_f64 v[4:5], v[0:1], v[30:31], v[34:35]
	v_mul_f64_e32 v[28:29], v[240:241], v[16:17]
	v_mul_f64_e32 v[30:31], v[240:241], v[210:211]
	scratch_store_b128 off, v[32:35], off offset:64
	v_dual_mov_b32 v84, v34 :: v_dual_mov_b32 v85, v35
	s_wait_loadcnt 0x1
	scratch_store_b128 off, v[114:117], off offset:176
	v_dual_mov_b32 v54, v116 :: v_dual_mov_b32 v55, v117
	scratch_store_b128 off, v[212:215], off offset:224
	v_dual_mov_b32 v142, v214 :: v_dual_mov_b32 v143, v215
	;; [unrolled: 2-line block ×4, first 2 shown]
	s_wait_loadcnt 0x0
	s_clause 0x1
	scratch_store_b128 off, v[146:149], off offset:256
	scratch_store_b128 off, v[2:5], off offset:1240
	v_fma_f64 v[28:29], v[188:189], v[66:67], v[28:29]
	v_fma_f64 v[30:31], v[188:189], v[38:39], v[30:31]
	s_delay_alu instid0(VALU_DEP_2) | instskip(NEXT) | instid1(VALU_DEP_2)
	v_fma_f64 v[28:29], v[76:77], v[64:65], v[28:29]
	v_fma_f64 v[30:31], v[76:77], v[112:113], v[30:31]
	s_delay_alu instid0(VALU_DEP_2) | instskip(NEXT) | instid1(VALU_DEP_2)
	v_fma_f64 v[220:221], v[0:1], v[28:29], v[44:45]
	v_fma_f64 v[222:223], v[0:1], v[30:31], v[46:47]
	v_dual_mov_b32 v28, v32 :: v_dual_mov_b32 v29, v33
	v_dual_mov_b32 v30, v34 :: v_dual_mov_b32 v31, v35
	v_mul_f64_e32 v[32:33], v[50:51], v[252:253]
	v_mul_f64_e32 v[34:35], v[50:51], v[254:255]
	v_dual_mov_b32 v30, v44 :: v_dual_mov_b32 v31, v45
	v_mul_f64_e32 v[44:45], v[240:241], v[252:253]
	v_mul_f64_e32 v[46:47], v[240:241], v[254:255]
	v_fma_f64 v[32:33], v[62:63], v[250:251], v[32:33]
	v_fma_f64 v[34:35], v[62:63], v[190:191], v[34:35]
	v_mul_f64_e32 v[62:63], v[74:75], v[252:253]
	v_fma_f64 v[44:45], v[188:189], v[250:251], v[44:45]
	v_fma_f64 v[46:47], v[188:189], v[190:191], v[46:47]
	v_fma_f64 v[32:33], v[48:49], v[10:11], v[32:33]
	v_fma_f64 v[34:35], v[48:49], v[12:13], v[34:35]
	scratch_load_b128 v[48:51], off, off offset:1256 th:TH_LOAD_LU ; 16-byte Folded Reload
	v_fma_f64 v[62:63], v[68:69], v[250:251], v[62:63]
	v_fma_f64 v[44:45], v[76:77], v[10:11], v[44:45]
	;; [unrolled: 1-line block ×3, first 2 shown]
	s_delay_alu instid0(VALU_DEP_3) | instskip(NEXT) | instid1(VALU_DEP_3)
	v_fma_f64 v[62:63], v[70:71], v[10:11], v[62:63]
	v_fma_f64 v[200:201], v[0:1], v[44:45], v[114:115]
	s_delay_alu instid0(VALU_DEP_3)
	v_fma_f64 v[202:203], v[0:1], v[46:47], v[116:117]
	s_wait_loadcnt 0x0
	v_dual_mov_b32 v44, v48 :: v_dual_mov_b32 v45, v49
	v_dual_mov_b32 v46, v50 :: v_dual_mov_b32 v47, v51
	scratch_store_b128 off, v[48:51], off offset:80
	v_dual_mov_b32 v46, v114 :: v_dual_mov_b32 v47, v115
	scratch_load_b128 v[114:117], off, off offset:1416 th:TH_LOAD_LU ; 16-byte Folded Reload
	v_fma_f64 v[78:79], v[0:1], v[32:33], v[48:49]
	v_fma_f64 v[80:81], v[0:1], v[34:35], v[50:51]
	v_dual_mov_b32 v52, v50 :: v_dual_mov_b32 v53, v51
	v_mul_f64_e32 v[48:49], v[74:75], v[130:131]
	v_mul_f64_e32 v[50:51], v[74:75], v[14:15]
	s_delay_alu instid0(VALU_DEP_2) | instskip(NEXT) | instid1(VALU_DEP_2)
	v_fma_f64 v[48:49], v[68:69], v[96:97], v[48:49]
	v_fma_f64 v[50:51], v[68:69], v[72:73], v[50:51]
	s_delay_alu instid0(VALU_DEP_2) | instskip(NEXT) | instid1(VALU_DEP_2)
	v_fma_f64 v[48:49], v[70:71], v[98:99], v[48:49]
	v_fma_f64 v[50:51], v[70:71], v[150:151], v[50:51]
	;; [unrolled: 3-line block ×3, first 2 shown]
	v_mul_f64_e32 v[48:49], v[22:23], v[130:131]
	v_mul_f64_e32 v[50:51], v[22:23], v[14:15]
	s_delay_alu instid0(VALU_DEP_2) | instskip(NEXT) | instid1(VALU_DEP_2)
	v_fma_f64 v[48:49], v[20:21], v[96:97], v[48:49]
	v_fma_f64 v[50:51], v[20:21], v[72:73], v[50:51]
	s_delay_alu instid0(VALU_DEP_2) | instskip(NEXT) | instid1(VALU_DEP_2)
	v_fma_f64 v[48:49], v[18:19], v[98:99], v[48:49]
	v_fma_f64 v[50:51], v[18:19], v[150:151], v[50:51]
	s_wait_loadcnt 0x0
	s_delay_alu instid0(VALU_DEP_2) | instskip(NEXT) | instid1(VALU_DEP_2)
	v_fma_f64 v[224:225], v[0:1], v[48:49], v[114:115]
	v_fma_f64 v[226:227], v[0:1], v[50:51], v[116:117]
	scratch_store_b128 off, v[114:117], off offset:320
	v_dual_mov_b32 v144, v116 :: v_dual_mov_b32 v145, v117
	v_dual_mov_b32 v214, v114 :: v_dual_mov_b32 v215, v115
	scratch_load_b128 v[114:117], off, off offset:1320 th:TH_LOAD_LU ; 16-byte Folded Reload
	v_mul_f64_e32 v[48:49], v[74:75], v[36:37]
	v_mul_f64_e32 v[50:51], v[74:75], v[126:127]
	s_delay_alu instid0(VALU_DEP_2) | instskip(NEXT) | instid1(VALU_DEP_2)
	v_fma_f64 v[48:49], v[68:69], v[122:123], v[48:49]
	v_fma_f64 v[50:51], v[68:69], v[56:57], v[50:51]
	s_delay_alu instid0(VALU_DEP_2) | instskip(NEXT) | instid1(VALU_DEP_2)
	v_fma_f64 v[48:49], v[70:71], v[124:125], v[48:49]
	v_fma_f64 v[50:51], v[70:71], v[128:129], v[50:51]
	s_wait_loadcnt 0x0
	s_delay_alu instid0(VALU_DEP_2) | instskip(NEXT) | instid1(VALU_DEP_2)
	v_fma_f64 v[2:3], v[0:1], v[48:49], v[114:115]
	v_fma_f64 v[4:5], v[0:1], v[50:51], v[116:117]
	v_mul_f64_e32 v[48:49], v[22:23], v[36:37]
	v_mul_f64_e32 v[50:51], v[22:23], v[126:127]
	scratch_store_b128 off, v[114:117], off offset:240
	v_dual_mov_b32 v138, v116 :: v_dual_mov_b32 v139, v117
	v_dual_mov_b32 v116, v132 :: v_dual_mov_b32 v117, v133
	v_fma_f64 v[48:49], v[20:21], v[122:123], v[48:49]
	v_fma_f64 v[50:51], v[20:21], v[56:57], v[50:51]
	s_delay_alu instid0(VALU_DEP_2) | instskip(NEXT) | instid1(VALU_DEP_2)
	v_fma_f64 v[48:49], v[18:19], v[124:125], v[48:49]
	v_fma_f64 v[50:51], v[18:19], v[128:129], v[50:51]
	s_delay_alu instid0(VALU_DEP_2) | instskip(NEXT) | instid1(VALU_DEP_2)
	v_fma_f64 v[176:177], v[0:1], v[48:49], v[132:133]
	v_fma_f64 v[178:179], v[0:1], v[50:51], v[134:135]
	v_mul_f64_e32 v[48:49], v[74:75], v[16:17]
	v_mul_f64_e32 v[50:51], v[74:75], v[210:211]
	v_dual_mov_b32 v134, v148 :: v_dual_mov_b32 v135, v149
	v_mul_f64_e32 v[74:75], v[74:75], v[254:255]
	s_delay_alu instid0(VALU_DEP_4) | instskip(NEXT) | instid1(VALU_DEP_4)
	v_fma_f64 v[48:49], v[68:69], v[66:67], v[48:49]
	v_fma_f64 v[50:51], v[68:69], v[38:39], v[50:51]
	s_delay_alu instid0(VALU_DEP_3) | instskip(SKIP_1) | instid1(VALU_DEP_4)
	v_fma_f64 v[68:69], v[68:69], v[190:191], v[74:75]
	v_mul_f64_e32 v[74:75], v[130:131], v[210:211]
	v_fma_f64 v[48:49], v[70:71], v[64:65], v[48:49]
	s_delay_alu instid0(VALU_DEP_4) | instskip(NEXT) | instid1(VALU_DEP_4)
	v_fma_f64 v[50:51], v[70:71], v[112:113], v[50:51]
	v_fma_f64 v[68:69], v[70:71], v[12:13], v[68:69]
	s_delay_alu instid0(VALU_DEP_4) | instskip(NEXT) | instid1(VALU_DEP_4)
	v_fma_f64 v[74:75], v[96:97], v[38:39], v[74:75]
	v_fma_f64 v[228:229], v[0:1], v[48:49], v[146:147]
	s_delay_alu instid0(VALU_DEP_4) | instskip(SKIP_3) | instid1(VALU_DEP_3)
	v_fma_f64 v[230:231], v[0:1], v[50:51], v[148:149]
	v_mul_f64_e32 v[48:49], v[22:23], v[16:17]
	v_mul_f64_e32 v[50:51], v[22:23], v[210:211]
	v_fma_f64 v[74:75], v[98:99], v[112:113], v[74:75]
	v_fma_f64 v[48:49], v[20:21], v[66:67], v[48:49]
	s_delay_alu instid0(VALU_DEP_3) | instskip(NEXT) | instid1(VALU_DEP_2)
	v_fma_f64 v[50:51], v[20:21], v[38:39], v[50:51]
	v_fma_f64 v[48:49], v[18:19], v[64:65], v[48:49]
	s_delay_alu instid0(VALU_DEP_2) | instskip(NEXT) | instid1(VALU_DEP_2)
	v_fma_f64 v[50:51], v[18:19], v[112:113], v[50:51]
	v_fma_f64 v[172:173], v[0:1], v[48:49], v[152:153]
	s_delay_alu instid0(VALU_DEP_2)
	v_fma_f64 v[174:175], v[0:1], v[50:51], v[154:155]
	v_dual_mov_b32 v48, v146 :: v_dual_mov_b32 v49, v147
	v_dual_mov_b32 v50, v148 :: v_dual_mov_b32 v51, v149
	;; [unrolled: 1-line block ×3, first 2 shown]
	s_clause 0x1
	scratch_load_b128 v[152:155], off, off offset:1272 th:TH_LOAD_LU
	scratch_load_b128 v[146:149], off, off offset:1368 th:TH_LOAD_LU
	s_wait_loadcnt 0x1
	v_fma_f64 v[232:233], v[0:1], v[62:63], v[152:153]
	v_fma_f64 v[234:235], v[0:1], v[68:69], v[154:155]
	v_mul_f64_e32 v[62:63], v[22:23], v[252:253]
	v_mul_f64_e32 v[68:69], v[22:23], v[254:255]
	scratch_store_b128 off, v[152:155], off offset:272
	s_wait_loadcnt 0x0
	scratch_store_b128 off, v[146:149], off offset:368
	v_dual_mov_b32 v70, v148 :: v_dual_mov_b32 v71, v149
	v_fma_f64 v[62:63], v[20:21], v[250:251], v[62:63]
	v_fma_f64 v[68:69], v[20:21], v[190:191], v[68:69]
	s_delay_alu instid0(VALU_DEP_2) | instskip(NEXT) | instid1(VALU_DEP_2)
	v_fma_f64 v[62:63], v[18:19], v[10:11], v[62:63]
	v_fma_f64 v[68:69], v[18:19], v[12:13], v[68:69]
	s_delay_alu instid0(VALU_DEP_2) | instskip(NEXT) | instid1(VALU_DEP_2)
	v_fma_f64 v[168:169], v[0:1], v[62:63], v[146:147]
	v_fma_f64 v[170:171], v[0:1], v[68:69], v[148:149]
	v_dual_mov_b32 v68, v154 :: v_dual_mov_b32 v69, v155
	v_dual_mov_b32 v154, v146 :: v_dual_mov_b32 v155, v147
	scratch_load_b128 v[146:149], off, off offset:1448 th:TH_LOAD_LU ; 16-byte Folded Reload
	v_mul_f64_e32 v[62:63], v[130:131], v[16:17]
	s_delay_alu instid0(VALU_DEP_1) | instskip(NEXT) | instid1(VALU_DEP_1)
	v_fma_f64 v[62:63], v[96:97], v[66:67], v[62:63]
	v_fma_f64 v[62:63], v[98:99], v[64:65], v[62:63]
	s_wait_loadcnt 0x0
	s_delay_alu instid0(VALU_DEP_1)
	v_fma_f64 v[32:33], v[0:1], v[62:63], v[146:147]
	v_fma_f64 v[34:35], v[0:1], v[74:75], v[148:149]
	v_mul_f64_e32 v[62:63], v[14:15], v[16:17]
	v_mul_f64_e32 v[74:75], v[14:15], v[210:211]
	v_dual_mov_b32 v118, v146 :: v_dual_mov_b32 v119, v147
	v_dual_mov_b32 v120, v148 :: v_dual_mov_b32 v121, v149
	;; [unrolled: 1-line block ×4, first 2 shown]
	v_fma_f64 v[62:63], v[72:73], v[66:67], v[62:63]
	v_fma_f64 v[74:75], v[72:73], v[38:39], v[74:75]
	s_delay_alu instid0(VALU_DEP_2) | instskip(NEXT) | instid1(VALU_DEP_2)
	v_fma_f64 v[62:63], v[150:151], v[64:65], v[62:63]
	v_fma_f64 v[74:75], v[150:151], v[112:113], v[74:75]
	s_delay_alu instid0(VALU_DEP_2) | instskip(NEXT) | instid1(VALU_DEP_2)
	v_fma_f64 v[196:197], v[0:1], v[62:63], v[216:217]
	v_fma_f64 v[198:199], v[0:1], v[74:75], v[218:219]
	v_mul_f64_e32 v[62:63], v[130:131], v[252:253]
	v_mul_f64_e32 v[74:75], v[130:131], v[254:255]
	scratch_load_b128 v[130:133], off, off offset:1432 th:TH_LOAD_LU ; 16-byte Folded Reload
	scratch_store_b128 off, v[146:149], off offset:448
	v_fma_f64 v[62:63], v[96:97], v[250:251], v[62:63]
	v_fma_f64 v[74:75], v[96:97], v[190:191], v[74:75]
	s_delay_alu instid0(VALU_DEP_2) | instskip(NEXT) | instid1(VALU_DEP_2)
	v_fma_f64 v[62:63], v[98:99], v[10:11], v[62:63]
	v_fma_f64 v[74:75], v[98:99], v[12:13], v[74:75]
	v_dual_mov_b32 v96, v206 :: v_dual_mov_b32 v97, v207
	v_dual_mov_b32 v98, v208 :: v_dual_mov_b32 v99, v209
	s_delay_alu instid0(VALU_DEP_1)
	v_dual_mov_b32 v148, v98 :: v_dual_mov_b32 v149, v99
	scratch_store_b128 off, v[96:99], off offset:560
	s_wait_loadcnt 0x0
	v_fma_f64 v[216:217], v[0:1], v[62:63], v[130:131]
	v_fma_f64 v[218:219], v[0:1], v[74:75], v[132:133]
	v_mul_f64_e32 v[62:63], v[14:15], v[252:253]
	v_mul_f64_e32 v[74:75], v[14:15], v[254:255]
	scratch_store_b128 off, v[130:133], off offset:464
	v_dual_mov_b32 v146, v132 :: v_dual_mov_b32 v147, v133
	v_dual_mov_b32 v132, v96 :: v_dual_mov_b32 v133, v97
	v_fma_f64 v[62:63], v[72:73], v[250:251], v[62:63]
	v_fma_f64 v[74:75], v[72:73], v[190:191], v[74:75]
	s_delay_alu instid0(VALU_DEP_2) | instskip(NEXT) | instid1(VALU_DEP_2)
	v_fma_f64 v[62:63], v[150:151], v[10:11], v[62:63]
	v_fma_f64 v[74:75], v[150:151], v[12:13], v[74:75]
	s_delay_alu instid0(VALU_DEP_2) | instskip(NEXT) | instid1(VALU_DEP_2)
	v_fma_f64 v[206:207], v[0:1], v[62:63], v[96:97]
	v_fma_f64 v[208:209], v[0:1], v[74:75], v[98:99]
	scratch_load_b128 v[96:99], off, off offset:1512 th:TH_LOAD_LU ; 16-byte Folded Reload
	v_mul_f64_e32 v[62:63], v[36:37], v[16:17]
	v_mul_f64_e32 v[16:17], v[126:127], v[16:17]
	s_delay_alu instid0(VALU_DEP_2) | instskip(NEXT) | instid1(VALU_DEP_2)
	v_fma_f64 v[62:63], v[122:123], v[66:67], v[62:63]
	v_fma_f64 v[16:17], v[56:57], v[66:67], v[16:17]
	v_mul_f64_e32 v[66:67], v[126:127], v[252:253]
	s_delay_alu instid0(VALU_DEP_3) | instskip(NEXT) | instid1(VALU_DEP_3)
	v_fma_f64 v[62:63], v[124:125], v[64:65], v[62:63]
	v_fma_f64 v[16:17], v[128:129], v[64:65], v[16:17]
	v_mul_f64_e32 v[64:65], v[36:37], v[210:211]
	s_delay_alu instid0(VALU_DEP_4) | instskip(NEXT) | instid1(VALU_DEP_3)
	v_fma_f64 v[66:67], v[56:57], v[250:251], v[66:67]
	v_fma_f64 v[180:181], v[0:1], v[16:17], v[108:109]
	v_mul_f64_e32 v[16:17], v[36:37], v[252:253]
	v_mul_f64_e32 v[36:37], v[36:37], v[254:255]
	v_fma_f64 v[64:65], v[122:123], v[38:39], v[64:65]
	s_delay_alu instid0(VALU_DEP_3) | instskip(NEXT) | instid1(VALU_DEP_3)
	v_fma_f64 v[16:17], v[122:123], v[250:251], v[16:17]
	v_fma_f64 v[36:37], v[122:123], v[190:191], v[36:37]
	s_delay_alu instid0(VALU_DEP_3) | instskip(NEXT) | instid1(VALU_DEP_3)
	v_fma_f64 v[64:65], v[124:125], v[112:113], v[64:65]
	v_fma_f64 v[16:17], v[124:125], v[10:11], v[16:17]
	s_delay_alu instid0(VALU_DEP_3)
	v_fma_f64 v[36:37], v[124:125], v[12:13], v[36:37]
	v_fma_f64 v[10:11], v[128:129], v[10:11], v[66:67]
	s_wait_loadcnt 0x0
	scratch_store_b128 off, v[96:99], off offset:640
	s_clause 0x1
	scratch_load_b64 v[66:67], off, off offset:1896
	scratch_load_b128 v[122:125], off, off offset:1496 th:TH_LOAD_LU
	v_fma_f64 v[184:185], v[0:1], v[62:63], v[96:97]
	v_mul_f64_e32 v[62:63], v[126:127], v[210:211]
	v_fma_f64 v[186:187], v[0:1], v[64:65], v[98:99]
	v_dual_mov_b32 v64, v110 :: v_dual_mov_b32 v65, v111
	scratch_store_b128 off, v[156:159], off offset:288
	scratch_load_b128 v[156:159], off, off offset:1704 ; 16-byte Folded Reload
	v_fma_f64 v[62:63], v[56:57], v[38:39], v[62:63]
	s_delay_alu instid0(VALU_DEP_1) | instskip(NEXT) | instid1(VALU_DEP_1)
	v_fma_f64 v[62:63], v[128:129], v[112:113], v[62:63]
	v_fma_f64 v[182:183], v[0:1], v[62:63], v[110:111]
	v_dual_mov_b32 v62, v98 :: v_dual_mov_b32 v63, v99
	v_dual_mov_b32 v98, v108 :: v_dual_mov_b32 v99, v109
	;; [unrolled: 1-line block ×4, first 2 shown]
	s_delay_alu instid0(VALU_DEP_2) | instskip(SKIP_4) | instid1(VALU_DEP_2)
	v_dual_mov_b32 v253, v111 :: v_dual_mov_b32 v252, v110
	scratch_store_b128 off, v[108:111], off offset:752
	v_fma_f64 v[92:93], v[0:1], v[10:11], v[108:109]
	v_mul_f64_e32 v[10:11], v[14:15], v[14:15]
	v_mul_f64_e32 v[14:15], v[126:127], v[126:127]
	v_fma_f64 v[10:11], v[72:73], v[72:73], v[10:11]
	s_delay_alu instid0(VALU_DEP_2) | instskip(NEXT) | instid1(VALU_DEP_2)
	v_fma_f64 v[14:15], v[56:57], v[56:57], v[14:15]
	v_fma_f64 v[10:11], v[150:151], v[150:151], v[10:11]
	s_delay_alu instid0(VALU_DEP_2)
	v_fma_f64 v[14:15], v[128:129], v[128:129], v[14:15]
	s_wait_loadcnt 0x1
	v_fma_f64 v[194:195], v[0:1], v[36:37], v[124:125]
	scratch_load_b64 v[36:37], off, off offset:2000 ; 8-byte Folded Reload
	s_clause 0x4
	scratch_store_b128 off, v[122:125], off offset:656
	scratch_store_b128 off, v[6:9], off offset:480
	;; [unrolled: 1-line block ×5, first 2 shown]
	v_mul_f64_e32 v[8:9], v[22:23], v[22:23]
	v_fma_f64 v[192:193], v[0:1], v[16:17], v[122:123]
	v_mul_f64_e32 v[16:17], v[126:127], v[254:255]
	v_mul_f64_e32 v[6:7], v[240:241], v[240:241]
	v_dual_mov_b32 v250, v124 :: v_dual_mov_b32 v251, v125
	scratch_load_b128 v[140:143], off, off offset:1200 ; 16-byte Folded Reload
	s_clause 0x1
	scratch_store_b128 off, v[84:87], off offset:864
	scratch_store_b128 off, v[134:137], off offset:880
	scratch_load_b128 v[136:139], off, off offset:1736 ; 16-byte Folded Reload
	s_clause 0x1
	scratch_store_b128 off, v[52:55], off offset:1056
	scratch_store_b128 off, v[68:71], off offset:1072
	s_clause 0x1
	scratch_load_b64 v[70:71], off, off offset:1952
	scratch_load_b64 v[68:69], off, off offset:1904
	s_clause 0x1
	scratch_store_b128 off, v[160:163], off offset:704
	scratch_store_b128 off, v[164:167], off offset:896
	v_dual_mov_b32 v167, v35 :: v_dual_mov_b32 v166, v34
	scratch_store_b128 off, v[62:65], off offset:912
	v_dual_mov_b32 v165, v33 :: v_dual_mov_b32 v164, v32
	s_clause 0x2
	scratch_load_b128 v[32:35], off, off offset:1672
	scratch_load_b64 v[64:65], off, off offset:1888
	scratch_load_b64 v[62:63], off, off offset:1880
	s_clause 0x1
	scratch_store_b128 off, v[146:149], off offset:1088
	scratch_store_b128 off, v[250:253], off offset:1104
	v_dual_mov_b32 v253, v5 :: v_dual_mov_b32 v252, v4
	scratch_store_b128 off, v[104:107], off offset:1120
	s_clause 0x1
	scratch_load_b128 v[144:147], off, off offset:1184
	scratch_load_b64 v[74:75], off, off offset:1864
	v_dual_mov_b32 v251, v3 :: v_dual_mov_b32 v250, v2
	s_clause 0x2
	scratch_load_b64 v[22:23], off, off offset:1936
	scratch_load_b64 v[72:73], off, off offset:1968
	;; [unrolled: 1-line block ×3, first 2 shown]
	v_dual_mov_b32 v124, v108 :: v_dual_mov_b32 v125, v109
	v_fma_f64 v[8:9], v[20:21], v[20:21], v[8:9]
	v_mul_f64_e32 v[20:21], v[254:255], v[254:255]
	v_fma_f64 v[16:17], v[56:57], v[190:191], v[16:17]
	v_fma_f64 v[6:7], v[188:189], v[188:189], v[6:7]
	s_delay_alu instid0(VALU_DEP_4) | instskip(NEXT) | instid1(VALU_DEP_4)
	v_fma_f64 v[8:9], v[18:19], v[18:19], v[8:9]
	v_fma_f64 v[20:21], v[190:191], v[190:191], v[20:21]
	s_delay_alu instid0(VALU_DEP_4)
	v_fma_f64 v[16:17], v[128:129], v[12:13], v[16:17]
	s_clause 0x3
	scratch_load_b128 v[188:191], off, off offset:1752
	scratch_load_b128 v[160:163], off, off offset:1640
	scratch_load_b64 v[18:19], off, off offset:1928
	scratch_load_b128 v[126:129], off, off offset:1576
	v_fma_f64 v[6:7], v[76:77], v[76:77], v[6:7]
	v_fma_f64 v[86:87], v[0:1], v[8:9], v[244:245]
	;; [unrolled: 1-line block ×3, first 2 shown]
	s_clause 0x2
	scratch_load_b64 v[20:21], off, off offset:1920
	scratch_load_b128 v[52:55], off, off offset:1544 th:TH_LOAD_LU
	scratch_load_b128 v[2:5], off, off offset:1560 th:TH_LOAD_LU
	v_fma_f64 v[94:95], v[0:1], v[16:17], v[110:111]
	v_mul_f64_e32 v[16:17], v[210:211], v[210:211]
	s_clause 0x2
	scratch_store_b128 off, v[242:245], off offset:304
	scratch_store_b128 off, v[246:249], off offset:720
	;; [unrolled: 1-line block ×3, first 2 shown]
	v_fma_f64 v[134:135], v[0:1], v[12:13], v[60:61]
	scratch_load_b64 v[12:13], off, off offset:1856 ; 8-byte Folded Reload
	v_fma_f64 v[16:17], v[38:39], v[38:39], v[16:17]
	s_delay_alu instid0(VALU_DEP_1)
	v_fma_f64 v[16:17], v[112:113], v[112:113], v[16:17]
	s_wait_loadcnt 0xf
	v_dual_mov_b32 v84, v34 :: v_dual_mov_b32 v85, v35
	s_wait_loadcnt 0x4
	v_dual_mov_b32 v110, v128 :: v_dual_mov_b32 v111, v129
	s_wait_loadcnt 0x2
	scratch_store_b128 off, v[52:55], off offset:96
	s_wait_loadcnt 0x1
	scratch_store_b128 off, v[2:5], off offset:512
	v_fma_f64 v[112:113], v[0:1], v[10:11], v[4:5]
	s_clause 0x1
	scratch_load_b64 v[10:11], off, off offset:1848
	scratch_load_b128 v[2:5], off, off offset:1592 th:TH_LOAD_LU
	v_fma_f64 v[150:151], v[0:1], v[6:7], v[54:55]
	v_fma_f64 v[6:7], v[0:1], v[14:15], v[248:249]
	v_dual_mov_b32 v14, v238 :: v_dual_mov_b32 v15, v239
	v_dual_mov_b32 v52, v220 :: v_dual_mov_b32 v53, v221
	;; [unrolled: 1-line block ×3, first 2 shown]
	s_wait_loadcnt 0x0
	scratch_store_b128 off, v[2:5], off offset:928
	v_fma_f64 v[90:91], v[0:1], v[16:17], v[4:5]
	s_clause 0x1
	scratch_load_b128 v[58:61], off, off offset:1768
	scratch_load_b128 v[0:3], off, off offset:1624 th:TH_LOAD_LU
	v_dual_mov_b32 v16, v226 :: v_dual_mov_b32 v17, v227
	v_dual_mov_b32 v4, v146 :: v_dual_mov_b32 v5, v147
	s_wait_loadcnt 0x0
	s_clause 0x1
	scratch_store_b128 off, v[0:3], off offset:192
	scratch_store_b128 off, v[24:27], off offset:384
	s_clause 0x1
	scratch_load_b64 v[26:27], off, off offset:1976
	scratch_load_b64 v[24:25], off, off offset:1944
	s_clause 0x1
	scratch_store_b128 off, v[212:215], off offset:400
	scratch_store_b128 off, v[40:43], off offset:576
	s_clause 0x2
	scratch_load_b128 v[212:215], off, off offset:1224
	scratch_load_b64 v[42:43], off, off offset:2008
	scratch_load_b64 v[40:41], off, off offset:1960
	s_clause 0x1
	scratch_store_b128 off, v[114:117], off offset:592
	scratch_store_b128 off, v[28:31], off offset:768
	v_dual_mov_b32 v117, v81 :: v_dual_mov_b32 v116, v80
	v_dual_mov_b32 v115, v79 :: v_dual_mov_b32 v114, v78
	s_clause 0x2
	scratch_load_b128 v[76:79], off, off offset:1168
	scratch_load_b64 v[30:31], off, off offset:1992
	scratch_load_b64 v[28:29], off, off offset:1984
	s_clause 0x1
	scratch_store_b128 off, v[48:51], off offset:784
	scratch_store_b128 off, v[44:47], off offset:960
	s_clause 0x2
	scratch_load_b64 v[48:49], off, off offset:1216
	scratch_load_b64 v[46:47], off, off offset:2024
	;; [unrolled: 1-line block ×3, first 2 shown]
	scratch_store_b128 off, v[152:155], off offset:976
	s_clause 0x1
	scratch_load_b128 v[152:155], off, off offset:1656
	scratch_load_b128 v[0:3], off, off offset:1688 th:TH_LOAD_LU
	s_wait_loadcnt 0x0
	s_clause 0x1
	scratch_store_b128 off, v[0:3], off offset:608
	scratch_store_b128 off, v[118:121], off offset:800
	v_dual_mov_b32 v119, v83 :: v_dual_mov_b32 v118, v82
	scratch_load_b128 v[80:83], off, off offset:1608 ; 16-byte Folded Reload
	scratch_store_b128 off, v[96:99], off offset:816
	scratch_load_b128 v[96:99], off, off offset:1720 ; 16-byte Folded Reload
	s_clause 0x1
	scratch_store_b128 off, v[130:133], off offset:992
	scratch_store_b128 off, v[122:125], off offset:1008
	scratch_load_b128 v[120:123], off, off offset:1240 ; 16-byte Folded Reload
	v_dual_mov_b32 v0, v162 :: v_dual_mov_b32 v1, v163
	v_dual_mov_b32 v88, v78 :: v_dual_mov_b32 v89, v79
	s_wait_loadcnt 0x2
	v_dual_mov_b32 v2, v82 :: v_dual_mov_b32 v3, v83
	scratch_store_b128 off, v[100:103], off offset:1024
	scratch_load_b128 v[102:105], off, off offset:1528 ; 16-byte Folded Reload
	scratch_store_b128 off, v[0:3], off offset:288
	v_dual_mov_b32 v0, v190 :: v_dual_mov_b32 v1, v191
	s_wait_loadcnt 0x2
	v_dual_mov_b32 v2, v98 :: v_dual_mov_b32 v3, v99
	s_clause 0x1
	scratch_store_b128 off, v[0:3], off offset:480
	scratch_store_b128 off, v[14:17], off offset:496
	v_dual_mov_b32 v0, v214 :: v_dual_mov_b32 v1, v215
	v_dual_mov_b32 v2, v60 :: v_dual_mov_b32 v3, v61
	;; [unrolled: 1-line block ×4, first 2 shown]
	s_clause 0x1
	scratch_store_b128 off, v[0:3], off offset:672
	scratch_store_b128 off, v[14:17], off offset:688
	s_wait_loadcnt 0x1
	v_dual_mov_b32 v0, v122 :: v_dual_mov_b32 v1, v123
	v_dual_mov_b32 v2, v54 :: v_dual_mov_b32 v3, v55
	;; [unrolled: 1-line block ×4, first 2 shown]
	s_clause 0x1
	scratch_store_b128 off, v[0:3], off offset:864
	scratch_store_b128 off, v[14:17], off offset:880
	v_dual_mov_b32 v0, v116 :: v_dual_mov_b32 v1, v117
	v_dual_mov_b32 v2, v202 :: v_dual_mov_b32 v3, v203
	;; [unrolled: 1-line block ×4, first 2 shown]
	s_clause 0x1
	scratch_store_b128 off, v[0:3], off offset:1056
	scratch_store_b128 off, v[14:17], off offset:1072
	v_dual_mov_b32 v0, v158 :: v_dual_mov_b32 v1, v159
	v_dual_mov_b32 v2, v154 :: v_dual_mov_b32 v3, v155
	;; [unrolled: 1-line block ×4, first 2 shown]
	scratch_store_b128 off, v[0:3], off offset:704
	v_dual_mov_b32 v0, v166 :: v_dual_mov_b32 v1, v167
	v_dual_mov_b32 v2, v198 :: v_dual_mov_b32 v3, v199
	s_clause 0x1
	scratch_store_b128 off, v[0:3], off offset:896
	scratch_store_b128 off, v[14:17], off offset:912
	v_dual_mov_b32 v0, v218 :: v_dual_mov_b32 v1, v219
	v_dual_mov_b32 v2, v208 :: v_dual_mov_b32 v3, v209
	v_dual_mov_b32 v14, v194 :: v_dual_mov_b32 v15, v195
	v_dual_mov_b32 v16, v94 :: v_dual_mov_b32 v17, v95
	s_clause 0x1
	scratch_store_b128 off, v[0:3], off offset:1088
	scratch_store_b128 off, v[14:17], off offset:1104
	v_dual_mov_b32 v0, v142 :: v_dual_mov_b32 v1, v143
	v_dual_mov_b32 v2, v138 :: v_dual_mov_b32 v3, v139
	;; [unrolled: 1-line block ×4, first 2 shown]
	scratch_store_b128 off, v[0:3], off offset:1120
	v_dual_mov_b32 v0, v160 :: v_dual_mov_b32 v1, v161
	v_dual_mov_b32 v2, v162 :: v_dual_mov_b32 v3, v163
	;; [unrolled: 1-line block ×4, first 2 shown]
	scratch_load_b128 v[220:223], off, off offset:1152 ; 16-byte Folded Reload
	scratch_store_b128 off, v[0:3], off offset:192
	v_dual_mov_b32 v0, v188 :: v_dual_mov_b32 v1, v189
	v_dual_mov_b32 v2, v190 :: v_dual_mov_b32 v3, v191
	v_dual_mov_b32 v2, v96 :: v_dual_mov_b32 v3, v97
	s_clause 0x1
	scratch_store_b128 off, v[0:3], off offset:384
	scratch_store_b128 off, v[14:17], off offset:400
	v_dual_mov_b32 v0, v212 :: v_dual_mov_b32 v1, v213
	v_dual_mov_b32 v2, v214 :: v_dual_mov_b32 v3, v215
	v_dual_mov_b32 v14, v250 :: v_dual_mov_b32 v15, v251
	v_dual_mov_b32 v2, v58 :: v_dual_mov_b32 v3, v59
	v_dual_mov_b32 v16, v252 :: v_dual_mov_b32 v17, v253
	v_dual_mov_b32 v16, v176 :: v_dual_mov_b32 v17, v177
	s_clause 0x1
	scratch_store_b128 off, v[0:3], off offset:576
	scratch_store_b128 off, v[14:17], off offset:592
	v_dual_mov_b32 v0, v120 :: v_dual_mov_b32 v1, v121
	v_dual_mov_b32 v2, v122 :: v_dual_mov_b32 v3, v123
	v_dual_mov_b32 v14, v228 :: v_dual_mov_b32 v15, v229
	;; [unrolled: 9-line block ×4, first 2 shown]
	v_dual_mov_b32 v14, v184 :: v_dual_mov_b32 v15, v185
	v_dual_mov_b32 v16, v186 :: v_dual_mov_b32 v17, v187
	scratch_store_b128 off, v[0:3], off offset:608
	v_dual_mov_b32 v0, v164 :: v_dual_mov_b32 v1, v165
	v_dual_mov_b32 v2, v166 :: v_dual_mov_b32 v3, v167
	;; [unrolled: 1-line block ×4, first 2 shown]
	s_clause 0x1
	scratch_store_b128 off, v[0:3], off offset:800
	scratch_store_b128 off, v[14:17], off offset:816
	v_dual_mov_b32 v0, v216 :: v_dual_mov_b32 v1, v217
	v_dual_mov_b32 v2, v218 :: v_dual_mov_b32 v3, v219
	;; [unrolled: 1-line block ×6, first 2 shown]
	s_clause 0x1
	scratch_store_b128 off, v[0:3], off offset:992
	scratch_store_b128 off, v[14:17], off offset:1008
	scratch_load_b64 v[14:15], off, off offset:1912 ; 8-byte Folded Reload
	v_dual_mov_b32 v0, v140 :: v_dual_mov_b32 v1, v141
	v_dual_mov_b32 v2, v142 :: v_dual_mov_b32 v3, v143
	;; [unrolled: 1-line block ×3, first 2 shown]
	scratch_store_b128 off, v[0:3], off offset:1024
	v_cndmask_b32_e64 v0, 0, 1, s16
	s_mov_b32 s16, 0
	s_wait_loadcnt 0x2
	s_clause 0x5
	scratch_store_b128 off, v[102:105], off
	scratch_store_b128 off, v[160:163], off offset:16
	scratch_store_b128 off, v[188:191], off offset:32
	;; [unrolled: 1-line block ×5, first 2 shown]
	v_cmp_ne_u32_e32 vcc_lo, 1, v0
	v_dual_mov_b32 v148, v104 :: v_dual_mov_b32 v149, v105
	s_clause 0x17
	scratch_store_b128 off, v[96:99], off offset:128
	scratch_store_b128 off, v[58:61], off offset:144
	;; [unrolled: 1-line block ×24, first 2 shown]
	s_wait_loadcnt 0x1
	v_dual_mov_b32 v132, v222 :: v_dual_mov_b32 v133, v223
	s_clause 0xb
	scratch_store_b128 off, v[152:155], off offset:528
	scratch_store_b128 off, v[136:139], off offset:944
	;; [unrolled: 1-line block ×12, first 2 shown]
	s_cbranch_vccz .LBB0_5
; %bb.6:                                ;   in Loop: Header=BB0_4 Depth=2
	s_and_b32 vcc_lo, exec_lo, s15
	s_mov_b32 s12, 0
	s_wait_alu 0xfffe
	s_cbranch_vccnz .LBB0_2
; %bb.7:                                ;   in Loop: Header=BB0_4 Depth=2
	s_mov_b64 s[10:11], s[6:7]
	s_branch .LBB0_4
.LBB0_8:
	v_mov_b32_e32 v0, 0
	v_mov_b32_e32 v1, 0
	s_mov_b32 s0, 0
.LBB0_9:                                ; =>This Inner Loop Header: Depth=1
	s_clause 0x2
	scratch_load_b128 v[2:5], off, s0
	scratch_load_b128 v[6:9], off, s0 offset:96
	scratch_load_b128 v[10:13], off, s0 offset:192
	s_wait_loadcnt 0x3
	s_clause 0xa
	scratch_load_b128 v[14:17], off, s0 offset:16
	scratch_load_b128 v[18:21], off, s0 offset:112
	;; [unrolled: 1-line block ×11, first 2 shown]
	s_wait_loadcnt 0xd
	v_add_f64_e32 v[2:3], 0, v[2:3]
	s_wait_loadcnt 0xc
	v_add_f64_e32 v[6:7], 0, v[6:7]
	;; [unrolled: 2-line block ×3, first 2 shown]
	s_delay_alu instid0(VALU_DEP_3)
	v_add_f64_e32 v[62:63], v[2:3], v[4:5]
	s_clause 0x1
	scratch_load_b128 v[2:5], off, s0 offset:256
	scratch_load_b128 v[58:61], off, s0 offset:80
	v_add_f64_e32 v[64:65], v[6:7], v[8:9]
	scratch_load_b128 v[6:9], off, s0 offset:176
	s_wait_loadcnt 0xd
	v_add_f64_e32 v[14:15], v[62:63], v[14:15]
	v_add_f64_e32 v[62:63], v[10:11], v[12:13]
	s_wait_loadcnt 0xc
	v_add_f64_e32 v[18:19], v[64:65], v[18:19]
	scratch_load_b128 v[10:13], off, s0 offset:272
	s_addk_co_i32 s0, 0x120
	s_delay_alu instid0(SALU_CYCLE_1)
	s_cmp_lg_u32 s0, 0x480
	v_add_f64_e32 v[14:15], v[14:15], v[16:17]
	s_wait_loadcnt 0xc
	v_add_f64_e32 v[16:17], v[62:63], v[22:23]
	v_add_f64_e32 v[18:19], v[18:19], v[20:21]
	s_wait_loadcnt 0xb
	s_delay_alu instid0(VALU_DEP_3) | instskip(NEXT) | instid1(VALU_DEP_3)
	v_add_f64_e32 v[14:15], v[14:15], v[26:27]
	v_add_f64_e32 v[16:17], v[16:17], v[24:25]
	s_wait_loadcnt 0xa
	s_delay_alu instid0(VALU_DEP_3) | instskip(NEXT) | instid1(VALU_DEP_3)
	;; [unrolled: 4-line block ×12, first 2 shown]
	v_add_f64_e32 v[2:3], v[2:3], v[10:11]
	v_add_f64_e32 v[4:5], v[4:5], v[8:9]
	s_delay_alu instid0(VALU_DEP_3) | instskip(NEXT) | instid1(VALU_DEP_3)
	v_add_f64_e32 v[0:1], v[0:1], v[6:7]
	v_add_f64_e32 v[2:3], v[2:3], v[12:13]
	s_delay_alu instid0(VALU_DEP_2) | instskip(NEXT) | instid1(VALU_DEP_1)
	v_add_f64_e32 v[0:1], v[0:1], v[4:5]
	v_add_f64_e32 v[0:1], v[0:1], v[2:3]
	s_cbranch_scc1 .LBB0_9
; %bb.10:
	scratch_load_b64 v[2:3], off, off offset:2128 th:TH_LOAD_LU ; 8-byte Folded Reload
	s_wait_loadcnt 0x0
	v_add_co_u32 v2, vcc_lo, s4, v2
	s_wait_alu 0xfffd
	v_add_co_ci_u32_e64 v3, null, s5, v3, vcc_lo
	global_store_b64 v[2:3], v[0:1], off
.LBB0_11:
	s_nop 0
	s_sendmsg sendmsg(MSG_DEALLOC_VGPRS)
	s_endpgm
	.section	.rodata,"a",@progbits
	.p2align	6, 0x0
	.amdhsa_kernel _ZN8rajaperf4apps6edge3dILm256EEEvPdS2_S2_S2_S2_S2_S2_S2_S2_S2_S2_S2_S2_S2_S2_S2_S2_S2_S2_S2_S2_S2_S2_S2_S2_ll
		.amdhsa_group_segment_fixed_size 0
		.amdhsa_private_segment_fixed_size 2144
		.amdhsa_kernarg_size 216
		.amdhsa_user_sgpr_count 2
		.amdhsa_user_sgpr_dispatch_ptr 0
		.amdhsa_user_sgpr_queue_ptr 0
		.amdhsa_user_sgpr_kernarg_segment_ptr 1
		.amdhsa_user_sgpr_dispatch_id 0
		.amdhsa_user_sgpr_private_segment_size 0
		.amdhsa_wavefront_size32 1
		.amdhsa_uses_dynamic_stack 0
		.amdhsa_enable_private_segment 1
		.amdhsa_system_sgpr_workgroup_id_x 1
		.amdhsa_system_sgpr_workgroup_id_y 0
		.amdhsa_system_sgpr_workgroup_id_z 0
		.amdhsa_system_sgpr_workgroup_info 0
		.amdhsa_system_vgpr_workitem_id 0
		.amdhsa_next_free_vgpr 256
		.amdhsa_next_free_sgpr 68
		.amdhsa_reserve_vcc 1
		.amdhsa_float_round_mode_32 0
		.amdhsa_float_round_mode_16_64 0
		.amdhsa_float_denorm_mode_32 3
		.amdhsa_float_denorm_mode_16_64 3
		.amdhsa_fp16_overflow 0
		.amdhsa_workgroup_processor_mode 1
		.amdhsa_memory_ordered 1
		.amdhsa_forward_progress 1
		.amdhsa_inst_pref_size 126
		.amdhsa_round_robin_scheduling 0
		.amdhsa_exception_fp_ieee_invalid_op 0
		.amdhsa_exception_fp_denorm_src 0
		.amdhsa_exception_fp_ieee_div_zero 0
		.amdhsa_exception_fp_ieee_overflow 0
		.amdhsa_exception_fp_ieee_underflow 0
		.amdhsa_exception_fp_ieee_inexact 0
		.amdhsa_exception_int_div_zero 0
	.end_amdhsa_kernel
	.section	.text._ZN8rajaperf4apps6edge3dILm256EEEvPdS2_S2_S2_S2_S2_S2_S2_S2_S2_S2_S2_S2_S2_S2_S2_S2_S2_S2_S2_S2_S2_S2_S2_S2_ll,"axG",@progbits,_ZN8rajaperf4apps6edge3dILm256EEEvPdS2_S2_S2_S2_S2_S2_S2_S2_S2_S2_S2_S2_S2_S2_S2_S2_S2_S2_S2_S2_S2_S2_S2_S2_ll,comdat
.Lfunc_end0:
	.size	_ZN8rajaperf4apps6edge3dILm256EEEvPdS2_S2_S2_S2_S2_S2_S2_S2_S2_S2_S2_S2_S2_S2_S2_S2_S2_S2_S2_S2_S2_S2_S2_S2_ll, .Lfunc_end0-_ZN8rajaperf4apps6edge3dILm256EEEvPdS2_S2_S2_S2_S2_S2_S2_S2_S2_S2_S2_S2_S2_S2_S2_S2_S2_S2_S2_S2_S2_S2_S2_S2_ll
                                        ; -- End function
	.set _ZN8rajaperf4apps6edge3dILm256EEEvPdS2_S2_S2_S2_S2_S2_S2_S2_S2_S2_S2_S2_S2_S2_S2_S2_S2_S2_S2_S2_S2_S2_S2_S2_ll.num_vgpr, 256
	.set _ZN8rajaperf4apps6edge3dILm256EEEvPdS2_S2_S2_S2_S2_S2_S2_S2_S2_S2_S2_S2_S2_S2_S2_S2_S2_S2_S2_S2_S2_S2_S2_S2_ll.num_agpr, 0
	.set _ZN8rajaperf4apps6edge3dILm256EEEvPdS2_S2_S2_S2_S2_S2_S2_S2_S2_S2_S2_S2_S2_S2_S2_S2_S2_S2_S2_S2_S2_S2_S2_S2_ll.numbered_sgpr, 68
	.set _ZN8rajaperf4apps6edge3dILm256EEEvPdS2_S2_S2_S2_S2_S2_S2_S2_S2_S2_S2_S2_S2_S2_S2_S2_S2_S2_S2_S2_S2_S2_S2_S2_ll.num_named_barrier, 0
	.set _ZN8rajaperf4apps6edge3dILm256EEEvPdS2_S2_S2_S2_S2_S2_S2_S2_S2_S2_S2_S2_S2_S2_S2_S2_S2_S2_S2_S2_S2_S2_S2_S2_ll.private_seg_size, 2144
	.set _ZN8rajaperf4apps6edge3dILm256EEEvPdS2_S2_S2_S2_S2_S2_S2_S2_S2_S2_S2_S2_S2_S2_S2_S2_S2_S2_S2_S2_S2_S2_S2_S2_ll.uses_vcc, 1
	.set _ZN8rajaperf4apps6edge3dILm256EEEvPdS2_S2_S2_S2_S2_S2_S2_S2_S2_S2_S2_S2_S2_S2_S2_S2_S2_S2_S2_S2_S2_S2_S2_S2_ll.uses_flat_scratch, 1
	.set _ZN8rajaperf4apps6edge3dILm256EEEvPdS2_S2_S2_S2_S2_S2_S2_S2_S2_S2_S2_S2_S2_S2_S2_S2_S2_S2_S2_S2_S2_S2_S2_S2_ll.has_dyn_sized_stack, 0
	.set _ZN8rajaperf4apps6edge3dILm256EEEvPdS2_S2_S2_S2_S2_S2_S2_S2_S2_S2_S2_S2_S2_S2_S2_S2_S2_S2_S2_S2_S2_S2_S2_S2_ll.has_recursion, 0
	.set _ZN8rajaperf4apps6edge3dILm256EEEvPdS2_S2_S2_S2_S2_S2_S2_S2_S2_S2_S2_S2_S2_S2_S2_S2_S2_S2_S2_S2_S2_S2_S2_S2_ll.has_indirect_call, 0
	.section	.AMDGPU.csdata,"",@progbits
; Kernel info:
; codeLenInByte = 16096
; TotalNumSgprs: 70
; NumVgprs: 256
; ScratchSize: 2144
; MemoryBound: 0
; FloatMode: 240
; IeeeMode: 1
; LDSByteSize: 0 bytes/workgroup (compile time only)
; SGPRBlocks: 0
; VGPRBlocks: 31
; NumSGPRsForWavesPerEU: 70
; NumVGPRsForWavesPerEU: 256
; Occupancy: 5
; WaveLimiterHint : 1
; COMPUTE_PGM_RSRC2:SCRATCH_EN: 1
; COMPUTE_PGM_RSRC2:USER_SGPR: 2
; COMPUTE_PGM_RSRC2:TRAP_HANDLER: 0
; COMPUTE_PGM_RSRC2:TGID_X_EN: 1
; COMPUTE_PGM_RSRC2:TGID_Y_EN: 0
; COMPUTE_PGM_RSRC2:TGID_Z_EN: 0
; COMPUTE_PGM_RSRC2:TIDIG_COMP_CNT: 0
	.section	.text._ZN8rajaperf17lambda_hip_forallILm256EZNS_4apps6EDGE3D17runHipVariantImplILm256EEEvNS_9VariantIDEEUllE_EEvllT0_,"axG",@progbits,_ZN8rajaperf17lambda_hip_forallILm256EZNS_4apps6EDGE3D17runHipVariantImplILm256EEEvNS_9VariantIDEEUllE_EEvllT0_,comdat
	.protected	_ZN8rajaperf17lambda_hip_forallILm256EZNS_4apps6EDGE3D17runHipVariantImplILm256EEEvNS_9VariantIDEEUllE_EEvllT0_ ; -- Begin function _ZN8rajaperf17lambda_hip_forallILm256EZNS_4apps6EDGE3D17runHipVariantImplILm256EEEvNS_9VariantIDEEUllE_EEvllT0_
	.globl	_ZN8rajaperf17lambda_hip_forallILm256EZNS_4apps6EDGE3D17runHipVariantImplILm256EEEvNS_9VariantIDEEUllE_EEvllT0_
	.p2align	8
	.type	_ZN8rajaperf17lambda_hip_forallILm256EZNS_4apps6EDGE3D17runHipVariantImplILm256EEEvNS_9VariantIDEEUllE_EEvllT0_,@function
_ZN8rajaperf17lambda_hip_forallILm256EZNS_4apps6EDGE3D17runHipVariantImplILm256EEEvNS_9VariantIDEEUllE_EEvllT0_: ; @_ZN8rajaperf17lambda_hip_forallILm256EZNS_4apps6EDGE3D17runHipVariantImplILm256EEEvNS_9VariantIDEEUllE_EEvllT0_
; %bb.0:
	s_load_b128 s[4:7], s[0:1], 0x0
	s_mov_b32 s20, ttmp9
	s_mov_b32 s21, 0
	s_delay_alu instid0(SALU_CYCLE_1) | instskip(SKIP_2) | instid1(SALU_CYCLE_1)
	s_lshl_b64 s[2:3], s[20:21], 8
	s_wait_kmcnt 0x0
	s_add_nc_u64 s[2:3], s[4:5], s[2:3]
	v_add_co_u32 v0, s2, s2, v0
	s_wait_alu 0xf1ff
	v_add_co_ci_u32_e64 v1, null, s3, 0, s2
	s_mov_b32 s2, exec_lo
	v_cmpx_gt_i64_e64 s[6:7], v[0:1]
	s_cbranch_execz .LBB1_11
; %bb.1:
	s_load_b512 s[44:59], s[0:1], 0x10
	v_lshlrev_b64_e32 v[47:48], 3, v[0:1]
	s_load_b512 s[4:19], s[0:1], 0x90
	v_mov_b32_e32 v134, 0
	v_dual_mov_b32 v135, 0 :: v_dual_mov_b32 v60, 0
	v_dual_mov_b32 v61, 0 :: v_dual_mov_b32 v94, 0
	s_mov_b32 s20, s21
	s_mov_b32 s22, s21
	;; [unrolled: 1-line block ×3, first 2 shown]
	v_mov_b32_e32 v138, 0
	v_dual_mov_b32 v186, 0 :: v_dual_mov_b32 v139, 0
	v_dual_mov_b32 v66, 0 :: v_dual_mov_b32 v187, 0
	;; [unrolled: 1-line block ×4, first 2 shown]
	v_mov_b32_e32 v57, s21
	s_wait_kmcnt 0x0
	v_add_co_u32 v0, vcc_lo, s44, v47
	s_delay_alu instid0(VALU_DEP_1)
	v_add_co_ci_u32_e64 v1, null, s45, v48, vcc_lo
	v_add_co_u32 v2, vcc_lo, s46, v47
	s_wait_alu 0xfffd
	v_add_co_ci_u32_e64 v3, null, s47, v48, vcc_lo
	v_add_co_u32 v4, vcc_lo, s48, v47
	s_wait_alu 0xfffd
	;; [unrolled: 3-line block ×3, first 2 shown]
	v_add_co_ci_u32_e64 v7, null, s51, v48, vcc_lo
	s_load_b512 s[36:51], s[0:1], 0x50
	global_load_b64 v[8:9], v[0:1], off
	global_load_b64 v[14:15], v[2:3], off
	;; [unrolled: 1-line block ×4, first 2 shown]
	v_add_co_u32 v0, vcc_lo, s52, v47
	s_wait_alu 0xfffd
	v_add_co_ci_u32_e64 v1, null, s53, v48, vcc_lo
	v_add_co_u32 v2, vcc_lo, s54, v47
	s_wait_alu 0xfffd
	v_add_co_ci_u32_e64 v3, null, s55, v48, vcc_lo
	;; [unrolled: 3-line block ×4, first 2 shown]
	v_dual_mov_b32 v231, 0 :: v_dual_mov_b32 v56, s20
	s_wait_kmcnt 0x0
	v_add_co_u32 v16, vcc_lo, s36, v47
	s_wait_alu 0xfffd
	v_add_co_ci_u32_e64 v17, null, s37, v48, vcc_lo
	global_load_b64 v[18:19], v[0:1], off
	global_load_b64 v[20:21], v[2:3], off
	global_load_b64 v[22:23], v[10:11], off
	global_load_b64 v[24:25], v[12:13], off
	global_load_b64 v[16:17], v[16:17], off
	v_add_co_u32 v0, vcc_lo, s38, v47
	s_wait_alu 0xfffd
	v_add_co_ci_u32_e64 v1, null, s39, v48, vcc_lo
	v_add_co_u32 v2, vcc_lo, s40, v47
	s_wait_alu 0xfffd
	v_add_co_ci_u32_e64 v3, null, s41, v48, vcc_lo
	v_add_co_u32 v10, vcc_lo, s42, v47
	s_wait_alu 0xfffd
	v_add_co_ci_u32_e64 v11, null, s43, v48, vcc_lo
	v_add_co_u32 v12, vcc_lo, s44, v47
	s_wait_alu 0xfffd
	v_add_co_ci_u32_e64 v13, null, s45, v48, vcc_lo
	v_add_co_u32 v26, vcc_lo, s46, v47
	s_wait_alu 0xfffd
	v_add_co_ci_u32_e64 v27, null, s47, v48, vcc_lo
	global_load_b64 v[28:29], v[0:1], off
	global_load_b64 v[30:31], v[2:3], off
	global_load_b64 v[32:33], v[10:11], off
	global_load_b64 v[34:35], v[12:13], off
	global_load_b64 v[26:27], v[26:27], off
	v_add_co_u32 v0, vcc_lo, s48, v47
	s_wait_alu 0xfffd
	v_add_co_ci_u32_e64 v1, null, s49, v48, vcc_lo
	v_add_co_u32 v2, vcc_lo, s50, v47
	s_wait_alu 0xfffd
	v_add_co_ci_u32_e64 v3, null, s51, v48, vcc_lo
	v_add_co_u32 v10, vcc_lo, s4, v47
	s_wait_alu 0xfffd
	v_add_co_ci_u32_e64 v11, null, s5, v48, vcc_lo
	v_add_co_u32 v12, vcc_lo, s6, v47
	s_wait_alu 0xfffd
	v_add_co_ci_u32_e64 v13, null, s7, v48, vcc_lo
	;; [unrolled: 20-line block ×3, first 2 shown]
	v_add_co_u32 v46, vcc_lo, s18, v47
	scratch_store_b64 off, v[47:48], off offset:2128 ; 8-byte Folded Spill
	s_wait_alu 0xfffd
	v_add_co_ci_u32_e64 v47, null, s19, v48, vcc_lo
	global_load_b64 v[48:49], v[0:1], off
	global_load_b64 v[50:51], v[2:3], off
	;; [unrolled: 1-line block ×5, first 2 shown]
	v_mov_b32_e32 v12, 0
	v_dual_mov_b32 v13, 0 :: v_dual_mov_b32 v10, v134
	v_dual_mov_b32 v11, v135 :: v_dual_mov_b32 v58, v134
	;; [unrolled: 1-line block ×3, first 2 shown]
	v_mov_b32_e32 v1, s21
	scratch_store_b128 off, v[10:13], off offset:1152 ; 16-byte Folded Spill
	v_dual_mov_b32 v2, s22 :: v_dual_mov_b32 v3, s23
	v_dual_mov_b32 v64, v134 :: v_dual_mov_b32 v65, v135
	scratch_store_b128 off, v[58:61], off offset:1168 ; 16-byte Folded Spill
	v_dual_mov_b32 v60, v134 :: v_dual_mov_b32 v61, v135
	s_load_b64 s[0:1], s[0:1], 0xd0
	scratch_store_b128 off, v[64:67], off offset:1200 ; 16-byte Folded Spill
	v_mov_b32_e32 v182, 0
	v_mov_b32_e32 v208, 0
	s_clause 0x1f
	scratch_store_b128 off, v[60:63], off offset:1184
	scratch_store_b128 off, v[0:3], off
	scratch_store_b128 off, v[0:3], off offset:16
	scratch_store_b128 off, v[0:3], off offset:32
	;; [unrolled: 1-line block ×30, first 2 shown]
	s_clause 0x6
	scratch_store_b64 off, v[56:57], off offset:184
	scratch_store_b128 off, v[0:3], off offset:360
	scratch_store_b64 off, v[56:57], off offset:376
	scratch_store_b128 off, v[0:3], off offset:552
	;; [unrolled: 2-line block ×3, first 2 shown]
	scratch_store_b64 off, v[56:57], off offset:760
	v_mov_b32_e32 v154, 0
	v_mov_b32_e32 v166, 0
	;; [unrolled: 1-line block ×11, first 2 shown]
	v_dual_mov_b32 v112, 0 :: v_dual_mov_b32 v183, 0
	v_dual_mov_b32 v194, 0 :: v_dual_mov_b32 v209, 0
	;; [unrolled: 1-line block ×7, first 2 shown]
	v_mov_b32_e32 v234, 0
	v_dual_mov_b32 v252, 0 :: v_dual_mov_b32 v251, v135
	v_dual_mov_b32 v238, 0 :: v_dual_mov_b32 v237, v135
	;; [unrolled: 1-line block ×11, first 2 shown]
	v_mov_b32_e32 v91, 0
	v_dual_mov_b32 v113, 0 :: v_dual_mov_b32 v86, 0
	v_mov_b32_e32 v150, 0
	s_mov_b32 s2, 0x74df99c7
	v_mov_b32_e32 v95, 0
	v_mov_b32_e32 v195, 0
	;; [unrolled: 1-line block ×8, first 2 shown]
	v_dual_mov_b32 v137, v135 :: v_dual_mov_b32 v136, v134
	v_dual_mov_b32 v92, v134 :: v_dual_mov_b32 v93, v135
	;; [unrolled: 1-line block ×22, first 2 shown]
	v_mov_b32_e32 v97, v135
	v_mov_b32_e32 v81, v135
	;; [unrolled: 1-line block ×4, first 2 shown]
	v_dual_mov_b32 v215, 0 :: v_dual_mov_b32 v212, v134
	v_dual_mov_b32 v191, 0 :: v_dual_mov_b32 v188, v134
	v_dual_mov_b32 v163, 0 :: v_dual_mov_b32 v160, v134
	v_mov_b32_e32 v103, v135
	v_mov_b32_e32 v87, 0
	;; [unrolled: 1-line block ×3, first 2 shown]
	s_mov_b32 s3, 0x3fcb0cb1
	s_mov_b32 s4, 0x4ad4b81f
	;; [unrolled: 1-line block ×3, first 2 shown]
	s_mov_b32 s10, -1
	s_mov_b32 s5, 0x358dee7a
	s_mov_b32 s7, 0x3fe93cd3
	s_wait_alu 0xfffe
	s_mov_b64 s[8:9], s[2:3]
	s_wait_loadcnt 0x15
	v_add_f64_e64 v[106:107], v[4:5], -v[14:15]
	s_wait_loadcnt 0x14
	v_add_f64_e64 v[12:13], v[6:7], -v[8:9]
	v_add_f64_e64 v[74:75], v[4:5], -v[6:7]
	s_wait_loadcnt 0x13
	v_add_f64_e64 v[10:11], v[18:19], -v[8:9]
	s_wait_loadcnt 0x12
	;; [unrolled: 2-line block ×4, first 2 shown]
	v_add_f64_e64 v[64:65], v[24:25], -v[18:19]
	v_add_f64_e64 v[66:67], v[22:23], -v[24:25]
	s_wait_loadcnt 0xc
	v_add_f64_e64 v[18:19], v[30:31], -v[32:33]
	scratch_store_b64 off, v[10:11], off offset:2032 ; 8-byte Folded Spill
	v_add_f64_e64 v[10:11], v[20:21], -v[14:15]
	v_add_f64_e64 v[20:21], v[32:33], -v[16:17]
	s_wait_loadcnt 0x9
	v_add_f64_e64 v[72:73], v[38:39], -v[26:27]
	s_wait_loadcnt 0x8
	v_add_f64_e64 v[70:71], v[40:41], -v[34:35]
	scratch_store_b64 off, v[10:11], off offset:2040 ; 8-byte Folded Spill
	v_add_f64_e64 v[10:11], v[22:23], -v[4:5]
	v_add_f64_e64 v[22:23], v[30:31], -v[28:29]
	scratch_store_b64 off, v[10:11], off offset:2048 ; 8-byte Folded Spill
	v_add_f64_e64 v[10:11], v[24:25], -v[6:7]
	v_add_f64_e64 v[24:25], v[26:27], -v[34:35]
	v_mov_b32_e32 v6, 0
	v_mov_b32_e32 v7, 0
	scratch_store_b64 off, v[10:11], off offset:2056 ; 8-byte Folded Spill
	v_add_f64_e64 v[10:11], v[34:35], -v[16:17]
	v_mov_b32_e32 v34, 0
	v_mov_b32_e32 v35, 0
	scratch_store_b64 off, v[10:11], off offset:2064 ; 8-byte Folded Spill
	v_add_f64_e64 v[10:11], v[26:27], -v[28:29]
	s_wait_loadcnt 0x6
	v_add_f64_e64 v[26:27], v[44:45], -v[42:43]
	scratch_store_b64 off, v[10:11], off offset:2072 ; 8-byte Folded Spill
	v_add_f64_e64 v[10:11], v[38:39], -v[30:31]
	s_wait_loadcnt 0x4
	v_add_f64_e64 v[30:31], v[36:37], -v[48:49]
	scratch_store_b64 off, v[10:11], off offset:2080 ; 8-byte Folded Spill
	v_add_f64_e64 v[10:11], v[40:41], -v[32:33]
	v_add_f64_e64 v[40:41], v[38:39], -v[40:41]
	v_dual_mov_b32 v32, v134 :: v_dual_mov_b32 v33, v135
	scratch_store_b64 off, v[10:11], off offset:2088 ; 8-byte Folded Spill
	s_wait_loadcnt 0x3
	v_add_f64_e64 v[10:11], v[50:51], -v[42:43]
	scratch_store_b64 off, v[10:11], off offset:2096 ; 8-byte Folded Spill
	s_wait_loadcnt 0x2
	v_add_f64_e64 v[10:11], v[52:53], -v[44:45]
	;; [unrolled: 3-line block ×3, first 2 shown]
	v_add_f64_e64 v[36:37], v[36:37], -v[44:45]
	s_wait_loadcnt 0x0
	v_add_f64_e64 v[44:45], v[46:47], -v[50:51]
	scratch_store_b64 off, v[10:11], off offset:2112 ; 8-byte Folded Spill
	v_add_f64_e64 v[10:11], v[46:47], -v[48:49]
	v_add_f64_e64 v[46:47], v[54:55], -v[46:47]
	scratch_store_b64 off, v[10:11], off offset:2120 ; 8-byte Folded Spill
	v_add_f64_e64 v[10:11], v[14:15], -v[8:9]
	v_add_f64_e64 v[14:15], v[28:29], -v[16:17]
	;; [unrolled: 1-line block ×5, first 2 shown]
	v_mov_b32_e32 v54, 0
	v_dual_mov_b32 v55, 0 :: v_dual_mov_b32 v52, v134
	v_mov_b32_e32 v53, v135
	s_clause 0x1b
	scratch_store_b128 off, v[0:3], off offset:936
	scratch_store_b64 off, v[56:57], off offset:952
	scratch_store_b128 off, v[0:3], off offset:1040
	scratch_store_b64 off, v[56:57], off offset:1144
	scratch_store_b64 off, v[10:11], off offset:1848
	;; [unrolled: 1-line block ×25, first 2 shown]
	s_branch .LBB1_3
.LBB1_2:                                ;   in Loop: Header=BB1_3 Depth=1
	s_mov_b32 s10, 0
	s_and_not1_b32 vcc_lo, exec_lo, s14
	s_mov_b64 s[8:9], s[6:7]
	s_wait_alu 0xfffe
	s_cbranch_vccz .LBB1_8
.LBB1_3:                                ; =>This Loop Header: Depth=1
                                        ;     Child Loop BB1_4 Depth 2
                                        ;       Child Loop BB1_5 Depth 3
	s_wait_alu 0xfffe
	v_add_f64_e64 v[118:119], -s[8:9], 1.0
	s_xor_b32 s14, s10, -1
	s_mov_b32 s12, -1
	s_mov_b64 s[10:11], s[2:3]
.LBB1_4:                                ;   Parent Loop BB1_3 Depth=1
                                        ; =>  This Loop Header: Depth=2
                                        ;       Child Loop BB1_5 Depth 3
	s_wait_alu 0xfffe
	v_add_f64_e64 v[0:1], -s[10:11], 1.0
	v_mul_f64_e64 v[50:51], s[8:9], s[10:11]
	s_mov_b32 s16, -1
	s_xor_b32 s15, s12, -1
	s_mov_b64 s[12:13], s[2:3]
	s_clause 0x1
	scratch_load_b64 v[2:3], off, off offset:2072
	scratch_load_b64 v[4:5], off, off offset:2104
	v_mul_f64_e32 v[8:9], s[8:9], v[0:1]
	scratch_store_b64 off, v[0:1], off offset:1840 ; 8-byte Folded Spill
	v_mul_f64_e32 v[16:17], v[118:119], v[0:1]
	scratch_load_b64 v[0:1], off, off offset:2040 ; 8-byte Folded Reload
	s_clause 0x1
	scratch_store_b64 off, v[8:9], off offset:1784
	scratch_store_b64 off, v[16:17], off offset:1792
	s_wait_loadcnt 0x2
	v_mul_f64_e32 v[2:3], v[2:3], v[8:9]
	s_wait_loadcnt 0x1
	v_mul_f64_e32 v[4:5], v[4:5], v[8:9]
	;; [unrolled: 2-line block ×3, first 2 shown]
	scratch_load_b64 v[8:9], off, off offset:2032 ; 8-byte Folded Reload
	s_wait_loadcnt 0x0
	v_fma_f64 v[0:1], v[8:9], v[16:17], v[0:1]
	scratch_load_b64 v[8:9], off, off offset:2064 ; 8-byte Folded Reload
	s_wait_loadcnt 0x0
	v_fma_f64 v[2:3], v[8:9], v[16:17], v[2:3]
	;; [unrolled: 3-line block ×3, first 2 shown]
	scratch_load_b64 v[8:9], off, off offset:2048 ; 8-byte Folded Reload
	v_mul_f64_e32 v[16:17], s[10:11], v[118:119]
	s_clause 0x1
	scratch_store_b64 off, v[50:51], off offset:1800
	scratch_store_b64 off, v[16:17], off offset:1808
	s_wait_loadcnt 0x0
	v_fma_f64 v[0:1], v[8:9], v[50:51], v[0:1]
	scratch_load_b64 v[8:9], off, off offset:2080 ; 8-byte Folded Reload
	s_wait_loadcnt 0x0
	v_fma_f64 v[2:3], v[8:9], v[50:51], v[2:3]
	scratch_load_b64 v[8:9], off, off offset:2112 ; 8-byte Folded Reload
	;; [unrolled: 3-line block ×3, first 2 shown]
	s_wait_loadcnt 0x0
	v_fma_f64 v[0:1], v[8:9], v[16:17], v[0:1]
	scratch_store_b64 off, v[0:1], off offset:1816 ; 8-byte Folded Spill
	scratch_load_b64 v[0:1], off, off offset:2088 ; 8-byte Folded Reload
	s_wait_loadcnt 0x0
	v_fma_f64 v[0:1], v[0:1], v[16:17], v[2:3]
	scratch_store_b64 off, v[0:1], off offset:1824 ; 8-byte Folded Spill
	scratch_load_b64 v[0:1], off, off offset:2120 ; 8-byte Folded Reload
	s_wait_loadcnt 0x0
	v_fma_f64 v[0:1], v[0:1], v[16:17], v[4:5]
	scratch_store_b64 off, v[0:1], off offset:1832 ; 8-byte Folded Spill
.LBB1_5:                                ;   Parent Loop BB1_3 Depth=1
                                        ;     Parent Loop BB1_4 Depth=2
                                        ; =>    This Inner Loop Header: Depth=3
	scratch_load_b64 v[148:149], off, off offset:1840 ; 8-byte Folded Reload
	s_wait_alu 0xfffe
	v_add_f64_e64 v[16:17], -s[12:13], 1.0
	v_dual_mov_b32 v143, v61 :: v_dual_mov_b32 v142, v60
	v_dual_mov_b32 v141, v59 :: v_dual_mov_b32 v140, v58
	;; [unrolled: 1-line block ×6, first 2 shown]
	s_clause 0x2
	scratch_load_b64 v[210:211], off, off offset:1816
	scratch_load_b64 v[240:241], off, off offset:1824
	;; [unrolled: 1-line block ×3, first 2 shown]
	v_mul_f64_e32 v[0:1], s[10:11], v[16:17]
	s_delay_alu instid0(VALU_DEP_1)
	v_mul_f64_e32 v[4:5], v[18:19], v[0:1]
	v_mul_f64_e32 v[8:9], v[30:31], v[0:1]
	;; [unrolled: 1-line block ×4, first 2 shown]
	s_wait_loadcnt 0x3
	v_mul_f64_e32 v[2:3], v[148:149], v[16:17]
	s_delay_alu instid0(VALU_DEP_1)
	v_fma_f64 v[4:5], v[14:15], v[2:3], v[4:5]
	v_fma_f64 v[8:9], v[26:27], v[2:3], v[8:9]
	v_mul_f64_e32 v[26:27], s[8:9], v[16:17]
	v_mul_f64_e32 v[14:15], v[20:21], v[18:19]
	;; [unrolled: 1-line block ×4, first 2 shown]
	s_delay_alu instid0(VALU_DEP_3) | instskip(NEXT) | instid1(VALU_DEP_3)
	v_fma_f64 v[14:15], v[22:23], v[26:27], v[14:15]
	v_fma_f64 v[20:21], v[36:37], v[26:27], v[20:21]
	s_delay_alu instid0(VALU_DEP_3) | instskip(SKIP_4) | instid1(VALU_DEP_4)
	v_fma_f64 v[4:5], v[24:25], v[28:29], v[4:5]
	v_mul_f64_e64 v[36:37], s[10:11], s[12:13]
	v_fma_f64 v[8:9], v[42:43], v[28:29], v[8:9]
	v_fma_f64 v[14:15], v[70:71], v[30:31], v[14:15]
	;; [unrolled: 1-line block ×4, first 2 shown]
	scratch_load_b64 v[4:5], off, off offset:1216 ; 8-byte Folded Reload
	v_fma_f64 v[24:25], v[46:47], v[36:37], v[8:9]
	v_mul_f64_e64 v[8:9], s[8:9], s[12:13]
	s_delay_alu instid0(VALU_DEP_1) | instskip(SKIP_1) | instid1(VALU_DEP_1)
	v_fma_f64 v[14:15], v[72:73], v[8:9], v[14:15]
	s_wait_loadcnt 0x3
	v_mul_f64_e32 v[54:55], v[210:211], v[14:15]
	s_wait_loadcnt 0x0
	v_fma_f64 v[48:49], v[4:5], v[8:9], v[20:21]
	v_mul_f64_e32 v[4:5], v[14:15], v[24:25]
	s_delay_alu instid0(VALU_DEP_2) | instskip(NEXT) | instid1(VALU_DEP_2)
	v_mul_f64_e32 v[20:21], v[50:51], v[48:49]
	v_mul_f64_e32 v[22:23], v[210:211], v[4:5]
	v_fma_f64 v[4:5], v[50:51], v[48:49], -v[4:5]
	s_delay_alu instid0(VALU_DEP_2) | instskip(SKIP_1) | instid1(VALU_DEP_1)
	v_fma_f64 v[20:21], v[210:211], v[20:21], -v[22:23]
	v_mul_f64_e32 v[22:23], v[12:13], v[18:19]
	v_fma_f64 v[22:23], v[106:107], v[26:27], v[22:23]
	s_delay_alu instid0(VALU_DEP_1) | instskip(NEXT) | instid1(VALU_DEP_1)
	v_fma_f64 v[22:23], v[64:65], v[30:31], v[22:23]
	v_fma_f64 v[56:57], v[68:69], v[8:9], v[22:23]
	s_delay_alu instid0(VALU_DEP_1) | instskip(SKIP_2) | instid1(VALU_DEP_3)
	v_mul_f64_e32 v[22:23], v[56:57], v[24:25]
	v_mul_f64_e32 v[38:39], v[56:57], v[50:51]
	v_fma_f64 v[54:55], v[240:241], v[56:57], -v[54:55]
	v_fma_f64 v[20:21], v[240:241], v[22:23], v[20:21]
	v_mul_f64_e32 v[22:23], v[74:75], v[0:1]
	s_delay_alu instid0(VALU_DEP_1) | instskip(NEXT) | instid1(VALU_DEP_1)
	v_fma_f64 v[22:23], v[10:11], v[2:3], v[22:23]
	v_fma_f64 v[22:23], v[62:63], v[28:29], v[22:23]
	s_delay_alu instid0(VALU_DEP_1) | instskip(NEXT) | instid1(VALU_DEP_1)
	v_fma_f64 v[60:61], v[66:67], v[36:37], v[22:23]
	v_mul_f64_e32 v[22:23], v[60:61], v[48:49]
	v_mul_f64_e32 v[40:41], v[60:61], v[14:15]
	;; [unrolled: 1-line block ×3, first 2 shown]
	s_delay_alu instid0(VALU_DEP_3) | instskip(SKIP_1) | instid1(VALU_DEP_3)
	v_fma_f64 v[20:21], -v[240:241], v[22:23], v[20:21]
	v_fma_f64 v[22:23], v[56:57], v[24:25], -v[22:23]
	v_fma_f64 v[52:53], v[210:211], v[50:51], -v[52:53]
	s_delay_alu instid0(VALU_DEP_3) | instskip(SKIP_1) | instid1(VALU_DEP_2)
	v_fma_f64 v[20:21], -v[124:125], v[38:39], v[20:21]
	v_fma_f64 v[38:39], v[60:61], v[14:15], -v[38:39]
	v_fma_f64 v[62:63], v[124:125], v[40:41], v[20:21]
	s_delay_alu instid0(VALU_DEP_1) | instskip(NEXT) | instid1(VALU_DEP_1)
	v_add_f64_e32 v[20:21], s[4:5], v[62:63]
	v_div_scale_f64 v[40:41], null, v[20:21], v[20:21], 1.0
	s_delay_alu instid0(VALU_DEP_1) | instskip(NEXT) | instid1(TRANS32_DEP_1)
	v_rcp_f64_e32 v[42:43], v[40:41]
	v_fma_f64 v[44:45], -v[40:41], v[42:43], 1.0
	s_delay_alu instid0(VALU_DEP_1) | instskip(NEXT) | instid1(VALU_DEP_1)
	v_fma_f64 v[42:43], v[42:43], v[44:45], v[42:43]
	v_fma_f64 v[44:45], -v[40:41], v[42:43], 1.0
	s_delay_alu instid0(VALU_DEP_1) | instskip(SKIP_1) | instid1(VALU_DEP_1)
	v_fma_f64 v[42:43], v[42:43], v[44:45], v[42:43]
	v_div_scale_f64 v[44:45], vcc_lo, 1.0, v[20:21], 1.0
	v_mul_f64_e32 v[46:47], v[44:45], v[42:43]
	s_delay_alu instid0(VALU_DEP_1) | instskip(SKIP_2) | instid1(VALU_DEP_2)
	v_fma_f64 v[40:41], -v[40:41], v[46:47], v[44:45]
	v_mul_f64_e32 v[44:45], v[124:125], v[56:57]
	s_wait_alu 0xfffd
	v_div_fmas_f64 v[40:41], v[40:41], v[42:43], v[46:47]
	v_mul_f64_e32 v[42:43], v[124:125], v[50:51]
	v_mul_f64_e32 v[46:47], v[210:211], v[24:25]
	s_delay_alu instid0(VALU_DEP_4) | instskip(NEXT) | instid1(VALU_DEP_4)
	v_fma_f64 v[44:45], v[210:211], v[48:49], -v[44:45]
	v_div_fixup_f64 v[20:21], v[40:41], v[20:21], 1.0
	v_mul_f64_e32 v[40:41], v[240:241], v[48:49]
	v_fma_f64 v[42:43], v[240:241], v[24:25], -v[42:43]
	v_fma_f64 v[46:47], v[124:125], v[60:61], -v[46:47]
	s_delay_alu instid0(VALU_DEP_4) | instskip(NEXT) | instid1(VALU_DEP_4)
	v_mul_f64_e32 v[76:77], v[4:5], v[20:21]
	v_fma_f64 v[40:41], v[124:125], v[14:15], -v[40:41]
	s_delay_alu instid0(VALU_DEP_4) | instskip(NEXT) | instid1(VALU_DEP_4)
	v_mul_f64_e32 v[42:43], v[42:43], v[20:21]
	v_mul_f64_e32 v[46:47], v[46:47], v[20:21]
	;; [unrolled: 1-line block ×12, first 2 shown]
	s_delay_alu instid0(VALU_DEP_4) | instskip(NEXT) | instid1(VALU_DEP_4)
	v_fma_f64 v[64:65], v[0:1], v[40:41], v[72:73]
	v_fma_f64 v[20:21], v[2:3], v[4:5], v[58:59]
	;; [unrolled: 1-line block ×18, first 2 shown]
	v_mul_f64_e32 v[0:1], v[96:97], v[96:97]
	v_mul_f64_e32 v[2:3], v[96:97], v[64:65]
	;; [unrolled: 1-line block ×3, first 2 shown]
	s_delay_alu instid0(VALU_DEP_3) | instskip(NEXT) | instid1(VALU_DEP_3)
	v_fma_f64 v[0:1], v[98:99], v[98:99], v[0:1]
	v_fma_f64 v[2:3], v[98:99], v[20:21], v[2:3]
	s_delay_alu instid0(VALU_DEP_3) | instskip(NEXT) | instid1(VALU_DEP_3)
	v_fma_f64 v[36:37], v[98:99], v[242:243], v[36:37]
	v_fma_f64 v[66:67], v[100:101], v[100:101], v[0:1]
	v_ldexp_f64 v[0:1], |v[62:63]|, -3
	s_delay_alu instid0(VALU_DEP_4) | instskip(NEXT) | instid1(VALU_DEP_4)
	v_fma_f64 v[2:3], v[100:101], v[22:23], v[2:3]
	v_fma_f64 v[36:37], v[100:101], v[244:245], v[36:37]
	s_delay_alu instid0(VALU_DEP_3) | instskip(NEXT) | instid1(VALU_DEP_3)
	v_fma_f64 v[220:221], v[0:1], v[66:67], v[102:103]
	v_fma_f64 v[222:223], v[0:1], v[2:3], v[104:105]
	;; [unrolled: 1-line block ×6, first 2 shown]
	v_mul_f64_e32 v[36:37], 0, v[40:41]
	v_fma_f64 v[102:103], v[52:53], 0, v[2:3]
	v_fma_f64 v[104:105], v[76:77], 0, v[66:67]
	;; [unrolled: 1-line block ×3, first 2 shown]
	s_delay_alu instid0(VALU_DEP_4) | instskip(SKIP_2) | instid1(VALU_DEP_2)
	v_fma_f64 v[70:71], v[26:27], v[42:43], v[36:37]
	v_fma_f64 v[68:69], v[18:19], v[42:43], v[36:37]
	v_mul_f64_e32 v[2:3], v[96:97], v[102:103]
	v_fma_f64 v[108:109], v[76:77], 0, v[68:69]
	s_delay_alu instid0(VALU_DEP_2) | instskip(NEXT) | instid1(VALU_DEP_1)
	v_fma_f64 v[2:3], v[98:99], v[104:105], v[2:3]
	v_fma_f64 v[2:3], v[100:101], v[28:29], v[2:3]
	s_delay_alu instid0(VALU_DEP_1) | instskip(SKIP_2) | instid1(VALU_DEP_2)
	v_fma_f64 v[160:161], v[0:1], v[2:3], v[160:161]
	v_mul_f64_e32 v[2:3], 0, v[4:5]
	v_fma_f64 v[4:5], v[4:5], 0, v[58:59]
	v_fma_f64 v[66:67], v[18:19], v[46:47], v[2:3]
	v_fma_f64 v[84:85], v[26:27], v[46:47], v[2:3]
	v_fma_f64 v[18:19], v[18:19], v[44:45], v[78:79]
	v_fma_f64 v[26:27], v[26:27], v[44:45], v[78:79]
	s_delay_alu instid0(VALU_DEP_4)
	v_fma_f64 v[106:107], v[52:53], 0, v[66:67]
	v_fma_f64 v[66:67], v[76:77], 0, v[70:71]
	;; [unrolled: 1-line block ×5, first 2 shown]
	v_mul_f64_e32 v[18:19], v[96:97], v[106:107]
	s_delay_alu instid0(VALU_DEP_4) | instskip(NEXT) | instid1(VALU_DEP_2)
	v_mul_f64_e32 v[26:27], v[96:97], v[70:71]
	v_fma_f64 v[18:19], v[98:99], v[108:109], v[18:19]
	s_delay_alu instid0(VALU_DEP_2) | instskip(NEXT) | instid1(VALU_DEP_2)
	v_fma_f64 v[26:27], v[98:99], v[66:67], v[26:27]
	v_fma_f64 v[18:19], v[100:101], v[110:111], v[18:19]
	s_delay_alu instid0(VALU_DEP_2) | instskip(NEXT) | instid1(VALU_DEP_2)
	v_fma_f64 v[26:27], v[100:101], v[68:69], v[26:27]
	v_fma_f64 v[10:11], v[0:1], v[18:19], v[188:189]
	;; [unrolled: 1-line block ×3, first 2 shown]
	s_delay_alu instid0(VALU_DEP_3)
	v_fma_f64 v[12:13], v[0:1], v[26:27], v[190:191]
	v_fma_f64 v[26:27], v[8:9], v[42:43], v[36:37]
	v_fma_f64 v[36:37], v[30:31], v[46:47], v[2:3]
	v_fma_f64 v[2:3], v[8:9], v[46:47], v[2:3]
	v_fma_f64 v[8:9], v[8:9], v[44:45], v[78:79]
	v_fma_f64 v[30:31], v[30:31], v[44:45], v[78:79]
	v_fma_f64 v[190:191], v[76:77], 0, v[18:19]
	scratch_store_b128 off, v[10:13], off offset:1224 ; 16-byte Folded Spill
	v_fma_f64 v[248:249], v[76:77], 0, v[26:27]
	v_fma_f64 v[204:205], v[52:53], 0, v[36:37]
	;; [unrolled: 1-line block ×5, first 2 shown]
	scratch_load_b64 v[12:13], off, off offset:1792 ; 8-byte Folded Reload
	v_fma_f64 v[26:27], v[54:55], 0, v[74:75]
	v_mul_f64_e32 v[8:9], v[96:97], v[204:205]
	v_mul_f64_e32 v[18:19], v[96:97], v[2:3]
	s_delay_alu instid0(VALU_DEP_2) | instskip(NEXT) | instid1(VALU_DEP_2)
	v_fma_f64 v[8:9], v[98:99], v[190:191], v[8:9]
	v_fma_f64 v[18:19], v[98:99], v[248:249], v[18:19]
	s_delay_alu instid0(VALU_DEP_2) | instskip(NEXT) | instid1(VALU_DEP_2)
	v_fma_f64 v[8:9], v[100:101], v[188:189], v[8:9]
	v_fma_f64 v[18:19], v[100:101], v[88:89], v[18:19]
	;; [unrolled: 3-line block ×3, first 2 shown]
	scratch_store_b128 off, v[8:11], off offset:1240 ; 16-byte Folded Spill
	scratch_load_b64 v[10:11], off, off offset:1784 ; 8-byte Folded Reload
	v_fma_f64 v[8:9], v[40:41], 0, v[72:73]
	s_wait_loadcnt 0x1
	v_fma_f64 v[212:213], v[12:13], v[52:53], v[4:5]
	s_delay_alu instid0(VALU_DEP_2) | instskip(SKIP_1) | instid1(VALU_DEP_3)
	v_fma_f64 v[78:79], v[12:13], v[76:77], v[8:9]
	v_fma_f64 v[214:215], v[12:13], v[38:39], v[26:27]
	v_mul_f64_e32 v[18:19], v[96:97], v[212:213]
	s_delay_alu instid0(VALU_DEP_1) | instskip(NEXT) | instid1(VALU_DEP_1)
	v_fma_f64 v[30:31], v[98:99], v[78:79], v[18:19]
	v_fma_f64 v[30:31], v[100:101], v[214:215], v[30:31]
	s_wait_loadcnt 0x0
	v_fma_f64 v[36:37], v[10:11], v[52:53], v[4:5]
	v_fma_f64 v[18:19], v[10:11], v[76:77], v[8:9]
	;; [unrolled: 1-line block ×3, first 2 shown]
	s_delay_alu instid0(VALU_DEP_4) | instskip(NEXT) | instid1(VALU_DEP_4)
	v_fma_f64 v[10:11], v[0:1], v[30:31], v[120:121]
	v_mul_f64_e32 v[40:41], v[96:97], v[36:37]
	s_delay_alu instid0(VALU_DEP_1) | instskip(NEXT) | instid1(VALU_DEP_1)
	v_fma_f64 v[40:41], v[98:99], v[18:19], v[40:41]
	v_fma_f64 v[40:41], v[100:101], v[58:59], v[40:41]
	s_delay_alu instid0(VALU_DEP_1)
	v_fma_f64 v[12:13], v[0:1], v[40:41], v[122:123]
	scratch_store_b128 off, v[10:13], off offset:1464 ; 16-byte Folded Spill
	s_clause 0x1
	scratch_load_b64 v[12:13], off, off offset:1808
	scratch_load_b64 v[10:11], off, off offset:1800
	s_wait_loadcnt 0x1
	v_fma_f64 v[74:75], v[12:13], v[52:53], v[4:5]
	s_wait_loadcnt 0x0
	v_fma_f64 v[4:5], v[10:11], v[52:53], v[4:5]
	v_fma_f64 v[72:73], v[12:13], v[76:77], v[8:9]
	;; [unrolled: 1-line block ×5, first 2 shown]
	v_mul_f64_e32 v[26:27], v[96:97], v[74:75]
	v_mul_f64_e32 v[30:31], v[96:97], v[4:5]
	s_delay_alu instid0(VALU_DEP_2) | instskip(NEXT) | instid1(VALU_DEP_2)
	v_fma_f64 v[26:27], v[98:99], v[72:73], v[26:27]
	v_fma_f64 v[30:31], v[98:99], v[8:9], v[30:31]
	s_delay_alu instid0(VALU_DEP_2) | instskip(NEXT) | instid1(VALU_DEP_2)
	v_fma_f64 v[26:27], v[100:101], v[76:77], v[26:27]
	v_fma_f64 v[30:31], v[100:101], v[84:85], v[30:31]
	s_delay_alu instid0(VALU_DEP_2) | instskip(NEXT) | instid1(VALU_DEP_2)
	v_fma_f64 v[10:11], v[0:1], v[26:27], v[114:115]
	v_fma_f64 v[12:13], v[0:1], v[30:31], v[116:117]
	v_mul_f64_e32 v[26:27], v[64:65], v[102:103]
	v_mul_f64_e32 v[30:31], v[64:65], v[246:247]
	scratch_store_b128 off, v[10:13], off offset:1256 ; 16-byte Folded Spill
	v_fma_f64 v[26:27], v[20:21], v[104:105], v[26:27]
	v_fma_f64 v[30:31], v[20:21], v[242:243], v[30:31]
	s_delay_alu instid0(VALU_DEP_2) | instskip(NEXT) | instid1(VALU_DEP_2)
	v_fma_f64 v[26:27], v[22:23], v[28:29], v[26:27]
	v_fma_f64 v[30:31], v[22:23], v[244:245], v[30:31]
	s_delay_alu instid0(VALU_DEP_2) | instskip(NEXT) | instid1(VALU_DEP_2)
	v_fma_f64 v[44:45], v[0:1], v[26:27], v[80:81]
	v_fma_f64 v[46:47], v[0:1], v[30:31], v[82:83]
	v_mul_f64_e32 v[26:27], v[64:65], v[106:107]
	v_mul_f64_e32 v[30:31], v[64:65], v[70:71]
	s_delay_alu instid0(VALU_DEP_2) | instskip(NEXT) | instid1(VALU_DEP_2)
	v_fma_f64 v[26:27], v[20:21], v[108:109], v[26:27]
	v_fma_f64 v[30:31], v[20:21], v[66:67], v[30:31]
	s_delay_alu instid0(VALU_DEP_2) | instskip(NEXT) | instid1(VALU_DEP_2)
	v_fma_f64 v[26:27], v[22:23], v[110:111], v[26:27]
	v_fma_f64 v[30:31], v[22:23], v[68:69], v[30:31]
	;; [unrolled: 3-line block ×3, first 2 shown]
	v_mul_f64_e32 v[26:27], v[64:65], v[204:205]
	v_mul_f64_e32 v[30:31], v[64:65], v[2:3]
	s_delay_alu instid0(VALU_DEP_2) | instskip(NEXT) | instid1(VALU_DEP_2)
	v_fma_f64 v[26:27], v[20:21], v[190:191], v[26:27]
	v_fma_f64 v[30:31], v[20:21], v[248:249], v[30:31]
	s_delay_alu instid0(VALU_DEP_2) | instskip(NEXT) | instid1(VALU_DEP_2)
	v_fma_f64 v[26:27], v[22:23], v[188:189], v[26:27]
	v_fma_f64 v[30:31], v[22:23], v[88:89], v[30:31]
	;; [unrolled: 3-line block ×3, first 2 shown]
	v_mul_f64_e32 v[26:27], v[64:65], v[212:213]
	v_mul_f64_e32 v[30:31], v[64:65], v[36:37]
	scratch_store_b128 off, v[10:13], off offset:1480 ; 16-byte Folded Spill
	v_fma_f64 v[26:27], v[20:21], v[78:79], v[26:27]
	v_fma_f64 v[30:31], v[20:21], v[18:19], v[30:31]
	s_delay_alu instid0(VALU_DEP_2) | instskip(NEXT) | instid1(VALU_DEP_2)
	v_fma_f64 v[26:27], v[22:23], v[214:215], v[26:27]
	v_fma_f64 v[30:31], v[22:23], v[58:59], v[30:31]
	s_delay_alu instid0(VALU_DEP_2) | instskip(NEXT) | instid1(VALU_DEP_2)
	v_fma_f64 v[10:11], v[0:1], v[26:27], v[130:131]
	v_fma_f64 v[12:13], v[0:1], v[30:31], v[132:133]
	v_mul_f64_e32 v[26:27], v[64:65], v[74:75]
	v_mul_f64_e32 v[30:31], v[64:65], v[4:5]
	scratch_store_b128 off, v[10:13], off offset:1352 ; 16-byte Folded Spill
	v_fma_f64 v[26:27], v[20:21], v[72:73], v[26:27]
	v_fma_f64 v[30:31], v[20:21], v[8:9], v[30:31]
	s_delay_alu instid0(VALU_DEP_2) | instskip(NEXT) | instid1(VALU_DEP_2)
	v_fma_f64 v[26:27], v[22:23], v[76:77], v[26:27]
	v_fma_f64 v[30:31], v[22:23], v[84:85], v[30:31]
	s_delay_alu instid0(VALU_DEP_2) | instskip(NEXT) | instid1(VALU_DEP_2)
	v_fma_f64 v[10:11], v[0:1], v[26:27], v[200:201]
	v_fma_f64 v[12:13], v[0:1], v[30:31], v[202:203]
	;; [unrolled: 11-line block ×3, first 2 shown]
	v_mul_f64_e32 v[26:27], v[102:103], v[106:107]
	v_mul_f64_e32 v[30:31], v[102:103], v[70:71]
	s_delay_alu instid0(VALU_DEP_2) | instskip(NEXT) | instid1(VALU_DEP_2)
	v_fma_f64 v[26:27], v[104:105], v[108:109], v[26:27]
	v_fma_f64 v[30:31], v[104:105], v[66:67], v[30:31]
	s_delay_alu instid0(VALU_DEP_2) | instskip(NEXT) | instid1(VALU_DEP_2)
	v_fma_f64 v[26:27], v[28:29], v[110:111], v[26:27]
	v_fma_f64 v[30:31], v[28:29], v[68:69], v[30:31]
	;; [unrolled: 3-line block ×3, first 2 shown]
	v_mul_f64_e32 v[26:27], v[102:103], v[204:205]
	v_mul_f64_e32 v[30:31], v[102:103], v[2:3]
	scratch_store_b128 off, v[10:13], off offset:1336 ; 16-byte Folded Spill
	v_fma_f64 v[26:27], v[104:105], v[190:191], v[26:27]
	v_fma_f64 v[30:31], v[104:105], v[248:249], v[30:31]
	s_delay_alu instid0(VALU_DEP_2) | instskip(NEXT) | instid1(VALU_DEP_2)
	v_fma_f64 v[26:27], v[28:29], v[188:189], v[26:27]
	v_fma_f64 v[30:31], v[28:29], v[88:89], v[30:31]
	s_delay_alu instid0(VALU_DEP_2) | instskip(NEXT) | instid1(VALU_DEP_2)
	v_fma_f64 v[10:11], v[0:1], v[26:27], v[250:251]
	v_fma_f64 v[12:13], v[0:1], v[30:31], v[252:253]
	v_mul_f64_e32 v[26:27], v[102:103], v[212:213]
	v_mul_f64_e32 v[30:31], v[102:103], v[36:37]
	scratch_store_b128 off, v[10:13], off offset:1320 ; 16-byte Folded Spill
	v_fma_f64 v[26:27], v[104:105], v[78:79], v[26:27]
	v_fma_f64 v[30:31], v[104:105], v[18:19], v[30:31]
	s_delay_alu instid0(VALU_DEP_2) | instskip(NEXT) | instid1(VALU_DEP_2)
	v_fma_f64 v[26:27], v[28:29], v[214:215], v[26:27]
	v_fma_f64 v[30:31], v[28:29], v[58:59], v[30:31]
	s_delay_alu instid0(VALU_DEP_2) | instskip(NEXT) | instid1(VALU_DEP_2)
	v_fma_f64 v[10:11], v[0:1], v[26:27], v[228:229]
	v_fma_f64 v[12:13], v[0:1], v[30:31], v[230:231]
	;; [unrolled: 11-line block ×3, first 2 shown]
	scratch_load_b128 v[26:29], off, off offset:1184 th:TH_LOAD_LU ; 16-byte Folded Reload
	scratch_store_b128 off, v[10:13], off offset:1272 ; 16-byte Folded Spill
	v_mul_f64_e32 v[10:11], v[246:247], v[106:107]
	v_mul_f64_e32 v[12:13], v[246:247], v[70:71]
	s_delay_alu instid0(VALU_DEP_2) | instskip(NEXT) | instid1(VALU_DEP_2)
	v_fma_f64 v[10:11], v[242:243], v[108:109], v[10:11]
	v_fma_f64 v[12:13], v[242:243], v[66:67], v[12:13]
	s_delay_alu instid0(VALU_DEP_2) | instskip(NEXT) | instid1(VALU_DEP_2)
	v_fma_f64 v[10:11], v[244:245], v[110:111], v[10:11]
	v_fma_f64 v[12:13], v[244:245], v[68:69], v[12:13]
	s_delay_alu instid0(VALU_DEP_2) | instskip(NEXT) | instid1(VALU_DEP_2)
	v_fma_f64 v[10:11], v[0:1], v[10:11], v[224:225]
	v_fma_f64 v[12:13], v[0:1], v[12:13], v[226:227]
	scratch_store_b128 off, v[10:13], off offset:1416 ; 16-byte Folded Spill
	v_mul_f64_e32 v[10:11], v[246:247], v[204:205]
	v_mul_f64_e32 v[12:13], v[246:247], v[2:3]
	s_delay_alu instid0(VALU_DEP_2) | instskip(NEXT) | instid1(VALU_DEP_2)
	v_fma_f64 v[10:11], v[242:243], v[190:191], v[10:11]
	v_fma_f64 v[12:13], v[242:243], v[248:249], v[12:13]
	s_delay_alu instid0(VALU_DEP_2) | instskip(NEXT) | instid1(VALU_DEP_2)
	v_fma_f64 v[10:11], v[244:245], v[188:189], v[10:11]
	v_fma_f64 v[12:13], v[244:245], v[88:89], v[12:13]
	s_delay_alu instid0(VALU_DEP_2) | instskip(NEXT) | instid1(VALU_DEP_2)
	v_fma_f64 v[10:11], v[0:1], v[10:11], v[176:177]
	v_fma_f64 v[12:13], v[0:1], v[12:13], v[178:179]
	;; [unrolled: 12-line block ×5, first 2 shown]
	v_mul_f64_e32 v[10:11], v[106:107], v[204:205]
	v_mul_f64_e32 v[12:13], v[106:107], v[2:3]
	s_delay_alu instid0(VALU_DEP_2) | instskip(NEXT) | instid1(VALU_DEP_2)
	v_fma_f64 v[10:11], v[108:109], v[190:191], v[10:11]
	v_fma_f64 v[12:13], v[108:109], v[248:249], v[12:13]
	s_delay_alu instid0(VALU_DEP_2) | instskip(NEXT) | instid1(VALU_DEP_2)
	v_fma_f64 v[10:11], v[110:111], v[188:189], v[10:11]
	v_fma_f64 v[12:13], v[110:111], v[88:89], v[12:13]
	;; [unrolled: 3-line block ×3, first 2 shown]
	v_mul_f64_e32 v[10:11], v[106:107], v[212:213]
	v_mul_f64_e32 v[12:13], v[106:107], v[36:37]
	v_dual_mov_b32 v156, v162 :: v_dual_mov_b32 v157, v163
	v_dual_mov_b32 v158, v46 :: v_dual_mov_b32 v159, v47
	s_delay_alu instid0(VALU_DEP_4) | instskip(NEXT) | instid1(VALU_DEP_4)
	v_fma_f64 v[10:11], v[108:109], v[78:79], v[10:11]
	v_fma_f64 v[12:13], v[108:109], v[18:19], v[12:13]
	s_delay_alu instid0(VALU_DEP_2) | instskip(NEXT) | instid1(VALU_DEP_2)
	v_fma_f64 v[10:11], v[110:111], v[214:215], v[10:11]
	v_fma_f64 v[12:13], v[110:111], v[58:59], v[12:13]
	s_delay_alu instid0(VALU_DEP_2) | instskip(NEXT) | instid1(VALU_DEP_2)
	v_fma_f64 v[10:11], v[0:1], v[10:11], v[164:165]
	v_fma_f64 v[12:13], v[0:1], v[12:13], v[166:167]
	scratch_store_b128 off, v[10:13], off offset:1448 ; 16-byte Folded Spill
	v_mul_f64_e32 v[10:11], v[106:107], v[74:75]
	v_mul_f64_e32 v[12:13], v[106:107], v[4:5]
	s_delay_alu instid0(VALU_DEP_2) | instskip(NEXT) | instid1(VALU_DEP_2)
	v_fma_f64 v[10:11], v[108:109], v[72:73], v[10:11]
	v_fma_f64 v[12:13], v[108:109], v[8:9], v[12:13]
	s_delay_alu instid0(VALU_DEP_2) | instskip(NEXT) | instid1(VALU_DEP_2)
	v_fma_f64 v[10:11], v[110:111], v[76:77], v[10:11]
	v_fma_f64 v[12:13], v[110:111], v[84:85], v[12:13]
	s_delay_alu instid0(VALU_DEP_2) | instskip(NEXT) | instid1(VALU_DEP_2)
	v_fma_f64 v[10:11], v[0:1], v[10:11], v[216:217]
	v_fma_f64 v[12:13], v[0:1], v[12:13], v[218:219]
	scratch_store_b128 off, v[10:13], off offset:1432 ; 16-byte Folded Spill
	v_mul_f64_e32 v[10:11], v[70:71], v[204:205]
	v_mul_f64_e32 v[12:13], v[70:71], v[2:3]
	s_delay_alu instid0(VALU_DEP_2) | instskip(NEXT) | instid1(VALU_DEP_2)
	v_fma_f64 v[10:11], v[66:67], v[190:191], v[10:11]
	v_fma_f64 v[12:13], v[66:67], v[248:249], v[12:13]
	s_delay_alu instid0(VALU_DEP_2) | instskip(NEXT) | instid1(VALU_DEP_2)
	v_fma_f64 v[10:11], v[68:69], v[188:189], v[10:11]
	v_fma_f64 v[12:13], v[68:69], v[88:89], v[12:13]
	s_delay_alu instid0(VALU_DEP_2) | instskip(NEXT) | instid1(VALU_DEP_2)
	v_fma_f64 v[164:165], v[0:1], v[10:11], v[152:153]
	v_fma_f64 v[166:167], v[0:1], v[12:13], v[154:155]
	v_mul_f64_e32 v[10:11], v[70:71], v[212:213]
	v_mul_f64_e32 v[12:13], v[70:71], v[36:37]
	s_delay_alu instid0(VALU_DEP_2) | instskip(NEXT) | instid1(VALU_DEP_2)
	v_fma_f64 v[10:11], v[66:67], v[78:79], v[10:11]
	v_fma_f64 v[12:13], v[66:67], v[18:19], v[12:13]
	s_delay_alu instid0(VALU_DEP_2) | instskip(NEXT) | instid1(VALU_DEP_2)
	v_fma_f64 v[10:11], v[68:69], v[214:215], v[10:11]
	v_fma_f64 v[12:13], v[68:69], v[58:59], v[12:13]
	s_delay_alu instid0(VALU_DEP_2) | instskip(NEXT) | instid1(VALU_DEP_2)
	v_fma_f64 v[216:217], v[0:1], v[10:11], v[196:197]
	v_fma_f64 v[218:219], v[0:1], v[12:13], v[198:199]
	;; [unrolled: 11-line block ×3, first 2 shown]
	v_mul_f64_e32 v[10:11], v[204:205], v[204:205]
	v_mul_f64_e32 v[12:13], v[204:205], v[2:3]
	s_delay_alu instid0(VALU_DEP_2) | instskip(NEXT) | instid1(VALU_DEP_2)
	v_fma_f64 v[10:11], v[190:191], v[190:191], v[10:11]
	v_fma_f64 v[12:13], v[190:191], v[248:249], v[12:13]
	s_delay_alu instid0(VALU_DEP_2) | instskip(NEXT) | instid1(VALU_DEP_2)
	v_fma_f64 v[10:11], v[188:189], v[188:189], v[10:11]
	v_fma_f64 v[12:13], v[188:189], v[88:89], v[12:13]
	s_wait_loadcnt 0x0
	s_delay_alu instid0(VALU_DEP_2) | instskip(NEXT) | instid1(VALU_DEP_2)
	v_fma_f64 v[104:105], v[0:1], v[10:11], v[26:27]
	v_fma_f64 v[106:107], v[0:1], v[12:13], v[28:29]
	v_mul_f64_e32 v[10:11], v[204:205], v[212:213]
	v_mul_f64_e32 v[12:13], v[204:205], v[36:37]
	scratch_load_b128 v[26:29], off, off offset:1168 th:TH_LOAD_LU ; 16-byte Folded Reload
	v_fma_f64 v[10:11], v[190:191], v[78:79], v[10:11]
	v_fma_f64 v[12:13], v[190:191], v[18:19], v[12:13]
	s_delay_alu instid0(VALU_DEP_2) | instskip(NEXT) | instid1(VALU_DEP_2)
	v_fma_f64 v[10:11], v[188:189], v[214:215], v[10:11]
	v_fma_f64 v[12:13], v[188:189], v[58:59], v[12:13]
	s_delay_alu instid0(VALU_DEP_2) | instskip(NEXT) | instid1(VALU_DEP_2)
	v_fma_f64 v[10:11], v[0:1], v[10:11], v[184:185]
	v_fma_f64 v[12:13], v[0:1], v[12:13], v[186:187]
	scratch_store_b128 off, v[10:13], off offset:1512 ; 16-byte Folded Spill
	v_mul_f64_e32 v[10:11], v[204:205], v[74:75]
	v_mul_f64_e32 v[12:13], v[204:205], v[4:5]
	s_delay_alu instid0(VALU_DEP_2) | instskip(NEXT) | instid1(VALU_DEP_2)
	v_fma_f64 v[10:11], v[190:191], v[72:73], v[10:11]
	v_fma_f64 v[12:13], v[190:191], v[8:9], v[12:13]
	s_delay_alu instid0(VALU_DEP_2) | instskip(NEXT) | instid1(VALU_DEP_2)
	v_fma_f64 v[10:11], v[188:189], v[76:77], v[10:11]
	v_fma_f64 v[12:13], v[188:189], v[84:85], v[12:13]
	;; [unrolled: 3-line block ×3, first 2 shown]
	scratch_store_b128 off, v[10:13], off offset:1496 ; 16-byte Folded Spill
	v_mul_f64_e32 v[10:11], v[2:3], v[212:213]
	v_mul_f64_e32 v[12:13], v[2:3], v[36:37]
	s_delay_alu instid0(VALU_DEP_2) | instskip(NEXT) | instid1(VALU_DEP_2)
	v_fma_f64 v[10:11], v[248:249], v[78:79], v[10:11]
	v_fma_f64 v[12:13], v[248:249], v[18:19], v[12:13]
	s_delay_alu instid0(VALU_DEP_2) | instskip(NEXT) | instid1(VALU_DEP_2)
	v_fma_f64 v[10:11], v[88:89], v[214:215], v[10:11]
	v_fma_f64 v[12:13], v[88:89], v[58:59], v[12:13]
	;; [unrolled: 3-line block ×3, first 2 shown]
	v_mul_f64_e32 v[10:11], v[2:3], v[74:75]
	v_mul_f64_e32 v[12:13], v[2:3], v[4:5]
	;; [unrolled: 1-line block ×3, first 2 shown]
	s_delay_alu instid0(VALU_DEP_3) | instskip(NEXT) | instid1(VALU_DEP_3)
	v_fma_f64 v[10:11], v[248:249], v[72:73], v[10:11]
	v_fma_f64 v[12:13], v[248:249], v[8:9], v[12:13]
	s_delay_alu instid0(VALU_DEP_3) | instskip(NEXT) | instid1(VALU_DEP_3)
	v_fma_f64 v[2:3], v[248:249], v[248:249], v[2:3]
	v_fma_f64 v[10:11], v[88:89], v[76:77], v[10:11]
	;; [unrolled: 3-line block ×4, first 2 shown]
	v_mul_f64_e32 v[10:11], v[212:213], v[212:213]
	v_mul_f64_e32 v[12:13], v[212:213], v[36:37]
	v_fma_f64 v[248:249], v[0:1], v[2:3], v[6:7]
	s_delay_alu instid0(VALU_DEP_3) | instskip(NEXT) | instid1(VALU_DEP_3)
	v_fma_f64 v[10:11], v[78:79], v[78:79], v[10:11]
	v_fma_f64 v[12:13], v[78:79], v[18:19], v[12:13]
	s_delay_alu instid0(VALU_DEP_2) | instskip(NEXT) | instid1(VALU_DEP_2)
	v_fma_f64 v[10:11], v[214:215], v[214:215], v[10:11]
	v_fma_f64 v[12:13], v[214:215], v[58:59], v[12:13]
	s_wait_loadcnt 0x0
	s_delay_alu instid0(VALU_DEP_2) | instskip(NEXT) | instid1(VALU_DEP_2)
	v_fma_f64 v[40:41], v[0:1], v[10:11], v[26:27]
	v_fma_f64 v[42:43], v[0:1], v[12:13], v[28:29]
	scratch_load_b128 v[26:29], off, off offset:1200 th:TH_LOAD_LU ; 16-byte Folded Reload
	v_mul_f64_e32 v[10:11], v[212:213], v[74:75]
	v_mul_f64_e32 v[12:13], v[212:213], v[4:5]
	s_delay_alu instid0(VALU_DEP_2) | instskip(NEXT) | instid1(VALU_DEP_2)
	v_fma_f64 v[10:11], v[78:79], v[72:73], v[10:11]
	v_fma_f64 v[12:13], v[78:79], v[8:9], v[12:13]
	s_delay_alu instid0(VALU_DEP_2) | instskip(NEXT) | instid1(VALU_DEP_2)
	v_fma_f64 v[10:11], v[214:215], v[76:77], v[10:11]
	v_fma_f64 v[12:13], v[214:215], v[84:85], v[12:13]
	s_wait_loadcnt 0x0
	s_delay_alu instid0(VALU_DEP_2) | instskip(NEXT) | instid1(VALU_DEP_2)
	v_fma_f64 v[100:101], v[0:1], v[10:11], v[26:27]
	v_fma_f64 v[102:103], v[0:1], v[12:13], v[28:29]
	scratch_load_b128 v[26:29], off, off offset:1152 th:TH_LOAD_LU ; 16-byte Folded Reload
	v_mul_f64_e32 v[10:11], v[36:37], v[74:75]
	v_mul_f64_e32 v[12:13], v[36:37], v[4:5]
	s_delay_alu instid0(VALU_DEP_2) | instskip(NEXT) | instid1(VALU_DEP_2)
	v_fma_f64 v[10:11], v[18:19], v[72:73], v[10:11]
	v_fma_f64 v[12:13], v[18:19], v[8:9], v[12:13]
	s_delay_alu instid0(VALU_DEP_2) | instskip(NEXT) | instid1(VALU_DEP_2)
	v_fma_f64 v[10:11], v[58:59], v[76:77], v[10:11]
	v_fma_f64 v[12:13], v[58:59], v[84:85], v[12:13]
	s_delay_alu instid0(VALU_DEP_2) | instskip(SKIP_1) | instid1(VALU_DEP_3)
	v_fma_f64 v[152:153], v[0:1], v[10:11], v[136:137]
	v_mul_f64_e32 v[10:11], v[74:75], v[74:75]
	v_fma_f64 v[154:155], v[0:1], v[12:13], v[138:139]
	v_mul_f64_e32 v[12:13], v[74:75], v[4:5]
	s_delay_alu instid0(VALU_DEP_3) | instskip(NEXT) | instid1(VALU_DEP_2)
	v_fma_f64 v[10:11], v[72:73], v[72:73], v[10:11]
	v_fma_f64 v[12:13], v[72:73], v[8:9], v[12:13]
	s_delay_alu instid0(VALU_DEP_2) | instskip(NEXT) | instid1(VALU_DEP_2)
	v_fma_f64 v[10:11], v[76:77], v[76:77], v[10:11]
	v_fma_f64 v[12:13], v[76:77], v[84:85], v[12:13]
	s_wait_loadcnt 0x0
	s_delay_alu instid0(VALU_DEP_2) | instskip(SKIP_1) | instid1(VALU_DEP_3)
	v_fma_f64 v[114:115], v[0:1], v[10:11], v[26:27]
	v_add_f64_e64 v[10:11], |v[62:63]|, s[4:5]
	v_fma_f64 v[116:117], v[0:1], v[12:13], v[28:29]
	s_delay_alu instid0(VALU_DEP_2) | instskip(NEXT) | instid1(VALU_DEP_1)
	v_div_scale_f64 v[12:13], null, v[10:11], v[10:11], 1.0
	v_rcp_f64_e32 v[26:27], v[12:13]
	s_delay_alu instid0(TRANS32_DEP_1) | instskip(NEXT) | instid1(VALU_DEP_1)
	v_fma_f64 v[28:29], -v[12:13], v[26:27], 1.0
	v_fma_f64 v[26:27], v[26:27], v[28:29], v[26:27]
	s_delay_alu instid0(VALU_DEP_1) | instskip(NEXT) | instid1(VALU_DEP_1)
	v_fma_f64 v[28:29], -v[12:13], v[26:27], 1.0
	v_fma_f64 v[26:27], v[26:27], v[28:29], v[26:27]
	v_div_scale_f64 v[28:29], vcc_lo, 1.0, v[10:11], 1.0
	s_delay_alu instid0(VALU_DEP_1) | instskip(NEXT) | instid1(VALU_DEP_1)
	v_mul_f64_e32 v[30:31], v[28:29], v[26:27]
	v_fma_f64 v[12:13], -v[12:13], v[30:31], v[28:29]
	s_wait_alu 0xfffd
	s_delay_alu instid0(VALU_DEP_1) | instskip(NEXT) | instid1(VALU_DEP_1)
	v_div_fmas_f64 v[12:13], v[12:13], v[26:27], v[30:31]
	v_div_fixup_f64 v[10:11], v[12:13], v[10:11], 1.0
	v_mul_f64_e32 v[12:13], v[64:65], v[64:65]
	s_delay_alu instid0(VALU_DEP_2)
	v_mul_f64_e32 v[180:181], v[60:61], v[10:11]
	v_mul_f64_e32 v[184:185], v[56:57], v[10:11]
	;; [unrolled: 1-line block ×9, first 2 shown]
	v_fma_f64 v[12:13], v[20:21], v[20:21], v[12:13]
	v_mul_f64_e32 v[60:61], 0, v[180:181]
	v_mul_f64_e32 v[82:83], 0, v[184:185]
	;; [unrolled: 1-line block ×6, first 2 shown]
	v_fma_f64 v[12:13], v[22:23], v[22:23], v[12:13]
	v_fma_f64 v[10:11], v[184:185], -v[148:149], v[60:61]
	s_delay_alu instid0(VALU_DEP_2) | instskip(NEXT) | instid1(VALU_DEP_2)
	v_fma_f64 v[20:21], v[0:1], v[12:13], v[150:151]
	v_fma_f64 v[62:63], v[16:17], v[28:29], v[10:11]
	v_fma_f64 v[10:11], v[182:183], -v[148:149], v[186:187]
	s_delay_alu instid0(VALU_DEP_1) | instskip(SKIP_1) | instid1(VALU_DEP_1)
	v_fma_f64 v[50:51], v[16:17], v[26:27], v[10:11]
	v_fma_f64 v[10:11], v[34:35], -v[148:149], v[192:193]
	v_fma_f64 v[48:49], v[16:17], v[24:25], v[10:11]
	v_fma_f64 v[10:11], v[184:185], -s[10:11], v[60:61]
	s_delay_alu instid0(VALU_DEP_1) | instskip(SKIP_1) | instid1(VALU_DEP_1)
	v_fma_f64 v[188:189], -v[28:29], v[16:17], v[10:11]
	v_fma_f64 v[10:11], v[182:183], -s[10:11], v[186:187]
	v_fma_f64 v[240:241], -v[26:27], v[16:17], v[10:11]
	v_fma_f64 v[10:11], v[34:35], -s[10:11], v[192:193]
	s_delay_alu instid0(VALU_DEP_2) | instskip(NEXT) | instid1(VALU_DEP_2)
	v_mul_f64_e32 v[12:13], v[50:51], v[240:241]
	v_fma_f64 v[76:77], -v[24:25], v[16:17], v[10:11]
	v_mul_f64_e32 v[10:11], v[50:51], v[50:51]
	s_delay_alu instid0(VALU_DEP_3) | instskip(NEXT) | instid1(VALU_DEP_2)
	v_fma_f64 v[12:13], v[62:63], v[188:189], v[12:13]
	v_fma_f64 v[10:11], v[62:63], v[62:63], v[10:11]
	s_delay_alu instid0(VALU_DEP_2) | instskip(NEXT) | instid1(VALU_DEP_2)
	v_fma_f64 v[12:13], v[48:49], v[76:77], v[12:13]
	v_fma_f64 v[10:11], v[48:49], v[48:49], v[10:11]
	s_delay_alu instid0(VALU_DEP_2) | instskip(NEXT) | instid1(VALU_DEP_2)
	v_fma_f64 v[12:13], v[0:1], v[12:13], v[222:223]
	v_fma_f64 v[10:11], v[0:1], v[10:11], v[220:221]
	s_clause 0x1
	scratch_store_b128 off, v[10:13], off offset:1528
	scratch_store_b128 off, v[220:223], off
	v_dual_mov_b32 v12, v20 :: v_dual_mov_b32 v13, v21
	v_dual_mov_b32 v10, v222 :: v_dual_mov_b32 v11, v223
	scratch_store_b128 off, v[10:13], off offset:1544 ; 16-byte Folded Spill
	v_fma_f64 v[10:11], v[118:119], v[180:181], v[82:83]
	s_delay_alu instid0(VALU_DEP_1) | instskip(SKIP_1) | instid1(VALU_DEP_1)
	v_fma_f64 v[96:97], v[28:29], -v[16:17], v[10:11]
	v_fma_f64 v[10:11], v[118:119], v[32:33], v[120:121]
	v_fma_f64 v[130:131], v[26:27], -v[16:17], v[10:11]
	v_fma_f64 v[10:11], v[118:119], v[30:31], v[56:57]
	s_delay_alu instid0(VALU_DEP_1) | instskip(SKIP_1) | instid1(VALU_DEP_1)
	v_fma_f64 v[98:99], v[24:25], -v[16:17], v[10:11]
	v_fma_f64 v[10:11], s[8:9], v[180:181], v[82:83]
	v_fma_f64 v[72:73], v[16:17], v[28:29], v[10:11]
	;; [unrolled: 1-line block ×3, first 2 shown]
	s_delay_alu instid0(VALU_DEP_1) | instskip(SKIP_1) | instid1(VALU_DEP_2)
	v_fma_f64 v[14:15], v[16:17], v[26:27], v[10:11]
	v_fma_f64 v[10:11], s[8:9], v[30:31], v[56:57]
	v_mul_f64_e32 v[12:13], v[130:131], v[14:15]
	s_delay_alu instid0(VALU_DEP_2) | instskip(SKIP_1) | instid1(VALU_DEP_3)
	v_fma_f64 v[150:151], v[16:17], v[24:25], v[10:11]
	v_mul_f64_e32 v[10:11], v[70:71], v[70:71]
	v_fma_f64 v[12:13], v[96:97], v[72:73], v[12:13]
	s_delay_alu instid0(VALU_DEP_2) | instskip(NEXT) | instid1(VALU_DEP_2)
	v_fma_f64 v[10:11], v[66:67], v[66:67], v[10:11]
	v_fma_f64 v[12:13], v[98:99], v[150:151], v[12:13]
	s_delay_alu instid0(VALU_DEP_2) | instskip(NEXT) | instid1(VALU_DEP_2)
	v_fma_f64 v[10:11], v[68:69], v[68:69], v[10:11]
	v_fma_f64 v[12:13], v[0:1], v[12:13], v[170:171]
	s_delay_alu instid0(VALU_DEP_2) | instskip(SKIP_1) | instid1(VALU_DEP_1)
	v_fma_f64 v[16:17], v[0:1], v[10:11], v[112:113]
	v_mul_f64_e32 v[10:11], v[130:131], v[130:131]
	v_fma_f64 v[10:11], v[96:97], v[96:97], v[10:11]
	s_delay_alu instid0(VALU_DEP_1) | instskip(NEXT) | instid1(VALU_DEP_1)
	v_fma_f64 v[10:11], v[98:99], v[98:99], v[10:11]
	v_fma_f64 v[10:11], v[0:1], v[10:11], v[168:169]
	s_clause 0x1
	scratch_store_b128 off, v[10:13], off offset:1576
	scratch_store_b128 off, v[168:171], off offset:416
	v_dual_mov_b32 v12, v16 :: v_dual_mov_b32 v13, v17
	v_dual_mov_b32 v10, v170 :: v_dual_mov_b32 v11, v171
	v_mul_f64_e32 v[16:17], v[148:149], v[34:35]
	scratch_store_b128 off, v[10:13], off offset:1560 ; 16-byte Folded Spill
	v_mul_f64_e32 v[10:11], v[36:37], v[36:37]
	v_mul_f64_e32 v[12:13], v[148:149], v[182:183]
	s_delay_alu instid0(VALU_DEP_2) | instskip(SKIP_2) | instid1(VALU_DEP_4)
	v_fma_f64 v[10:11], v[18:19], v[18:19], v[10:11]
	v_fma_f64 v[18:19], v[30:31], -v[118:119], v[16:17]
	v_mul_f64_e64 v[16:17], v[184:185], -v[148:149]
	v_fma_f64 v[12:13], v[32:33], -v[118:119], v[12:13]
	s_delay_alu instid0(VALU_DEP_4) | instskip(NEXT) | instid1(VALU_DEP_4)
	v_fma_f64 v[10:11], v[58:59], v[58:59], v[10:11]
	v_fma_f64 v[64:65], v[24:25], 0, v[18:19]
	s_delay_alu instid0(VALU_DEP_4)
	v_fma_f64 v[20:21], v[180:181], -s[8:9], v[16:17]
	v_mul_f64_e64 v[16:17], v[182:183], -v[148:149]
	v_fma_f64 v[18:19], v[148:149], v[182:183], v[186:187]
	v_fma_f64 v[58:59], v[0:1], v[10:11], v[90:91]
	v_mul_f64_e32 v[10:11], v[148:149], v[184:185]
	v_fma_f64 v[38:39], v[28:29], 0, v[20:21]
	v_fma_f64 v[22:23], v[32:33], -s[8:9], v[16:17]
	v_mul_f64_e64 v[16:17], v[34:35], -v[148:149]
	v_fma_f64 v[74:75], s[12:13], v[26:27], v[18:19]
	v_fma_f64 v[10:11], v[180:181], -v[118:119], v[10:11]
	s_delay_alu instid0(VALU_DEP_4) | instskip(NEXT) | instid1(VALU_DEP_4)
	v_fma_f64 v[210:211], v[26:27], 0, v[22:23]
	v_fma_f64 v[36:37], v[30:31], -s[8:9], v[16:17]
	v_fma_f64 v[16:17], v[26:27], 0, v[12:13]
	v_fma_f64 v[22:23], s[10:11], v[182:183], v[186:187]
	;; [unrolled: 1-line block ×3, first 2 shown]
	s_delay_alu instid0(VALU_DEP_4) | instskip(NEXT) | instid1(VALU_DEP_4)
	v_fma_f64 v[112:113], v[24:25], 0, v[36:37]
	v_mul_f64_e32 v[10:11], v[16:17], v[16:17]
	v_mul_f64_e32 v[12:13], v[16:17], v[210:211]
	v_fma_f64 v[22:23], -v[26:27], s[12:13], v[22:23]
	v_fma_f64 v[36:37], v[148:149], v[34:35], v[192:193]
	s_delay_alu instid0(VALU_DEP_4) | instskip(NEXT) | instid1(VALU_DEP_4)
	v_fma_f64 v[10:11], v[66:67], v[66:67], v[10:11]
	v_fma_f64 v[12:13], v[66:67], v[38:39], v[12:13]
	s_delay_alu instid0(VALU_DEP_3) | instskip(SKIP_1) | instid1(VALU_DEP_4)
	v_fma_f64 v[70:71], s[12:13], v[24:25], v[36:37]
	v_fma_f64 v[36:37], -v[32:33], v[118:119], v[120:121]
	v_fma_f64 v[10:11], v[64:65], v[64:65], v[10:11]
	s_delay_alu instid0(VALU_DEP_4) | instskip(NEXT) | instid1(VALU_DEP_3)
	v_fma_f64 v[12:13], v[64:65], v[112:113], v[12:13]
	v_fma_f64 v[36:37], v[26:27], -s[12:13], v[36:37]
	s_delay_alu instid0(VALU_DEP_3) | instskip(NEXT) | instid1(VALU_DEP_3)
	v_fma_f64 v[10:11], v[0:1], v[10:11], v[40:41]
	v_fma_f64 v[12:13], v[0:1], v[12:13], v[42:43]
	s_clause 0x1
	scratch_store_b128 off, v[10:13], off offset:1168
	scratch_store_b128 off, v[40:43], off offset:832
	v_dual_mov_b32 v12, v58 :: v_dual_mov_b32 v13, v59
	v_dual_mov_b32 v10, v42 :: v_dual_mov_b32 v11, v43
	v_fma_f64 v[40:41], s[10:11], v[34:35], v[192:193]
	v_fma_f64 v[42:43], -v[30:31], v[118:119], v[56:57]
	v_mul_f64_e32 v[2:3], v[36:37], v[36:37]
	v_dual_mov_b32 v58, v116 :: v_dual_mov_b32 v59, v117
	scratch_store_b128 off, v[10:13], off offset:1592 ; 16-byte Folded Spill
	v_fma_f64 v[10:11], v[148:149], v[184:185], v[60:61]
	v_fma_f64 v[12:13], s[10:11], v[184:185], v[60:61]
	v_fma_f64 v[18:19], -v[24:25], s[12:13], v[40:41]
	v_fma_f64 v[40:41], -v[32:33], s[8:9], v[120:121]
	v_fma_f64 v[124:125], v[24:25], -s[12:13], v[42:43]
	v_fma_f64 v[68:69], s[12:13], v[28:29], v[10:11]
	v_fma_f64 v[20:21], -v[28:29], s[12:13], v[12:13]
	v_mul_f64_e32 v[10:11], v[50:51], v[74:75]
	v_mul_f64_e32 v[12:13], v[50:51], v[22:23]
	v_fma_f64 v[126:127], s[12:13], v[26:27], v[40:41]
	s_delay_alu instid0(VALU_DEP_3) | instskip(NEXT) | instid1(VALU_DEP_3)
	v_fma_f64 v[10:11], v[62:63], v[68:69], v[10:11]
	v_fma_f64 v[12:13], v[62:63], v[20:21], v[12:13]
	s_delay_alu instid0(VALU_DEP_3) | instskip(NEXT) | instid1(VALU_DEP_3)
	v_mul_f64_e32 v[6:7], v[36:37], v[126:127]
	v_fma_f64 v[10:11], v[48:49], v[70:71], v[10:11]
	s_delay_alu instid0(VALU_DEP_3) | instskip(NEXT) | instid1(VALU_DEP_2)
	v_fma_f64 v[12:13], v[48:49], v[18:19], v[12:13]
	v_fma_f64 v[10:11], v[0:1], v[10:11], v[160:161]
	s_delay_alu instid0(VALU_DEP_2) | instskip(SKIP_3) | instid1(VALU_DEP_2)
	v_fma_f64 v[12:13], v[0:1], v[12:13], v[162:163]
	scratch_store_b128 off, v[10:13], off offset:1640 ; 16-byte Folded Spill
	v_mul_f64_e32 v[10:11], v[240:241], v[74:75]
	v_mul_f64_e32 v[12:13], v[240:241], v[22:23]
	v_fma_f64 v[10:11], v[188:189], v[68:69], v[10:11]
	s_delay_alu instid0(VALU_DEP_2) | instskip(NEXT) | instid1(VALU_DEP_2)
	v_fma_f64 v[12:13], v[188:189], v[20:21], v[12:13]
	v_fma_f64 v[10:11], v[76:77], v[70:71], v[10:11]
	s_delay_alu instid0(VALU_DEP_2) | instskip(NEXT) | instid1(VALU_DEP_2)
	v_fma_f64 v[12:13], v[76:77], v[18:19], v[12:13]
	v_fma_f64 v[10:11], v[0:1], v[10:11], v[44:45]
	s_delay_alu instid0(VALU_DEP_2)
	v_fma_f64 v[12:13], v[0:1], v[12:13], v[46:47]
	s_clause 0x1
	scratch_store_b128 off, v[10:13], off offset:1608
	scratch_store_b128 off, v[160:163], off offset:16
	v_mul_f64_e32 v[10:11], v[246:247], v[246:247]
	v_mul_f64_e32 v[12:13], v[74:75], v[22:23]
	v_dual_mov_b32 v162, v44 :: v_dual_mov_b32 v163, v45
	s_clause 0x1
	scratch_store_b128 off, v[44:47], off offset:112
	scratch_store_b128 off, v[200:203], off offset:208
	v_fma_f64 v[44:45], -v[30:31], s[8:9], v[56:57]
	v_dual_mov_b32 v246, v106 :: v_dual_mov_b32 v247, v107
	v_fma_f64 v[10:11], v[242:243], v[242:243], v[10:11]
	v_fma_f64 v[12:13], v[68:69], v[20:21], v[12:13]
	v_dual_mov_b32 v242, v202 :: v_dual_mov_b32 v243, v203
	v_fma_f64 v[128:129], s[12:13], v[24:25], v[44:45]
	s_delay_alu instid0(VALU_DEP_4) | instskip(NEXT) | instid1(VALU_DEP_4)
	v_fma_f64 v[10:11], v[244:245], v[244:245], v[10:11]
	v_fma_f64 v[12:13], v[70:71], v[18:19], v[12:13]
	s_delay_alu instid0(VALU_DEP_2) | instskip(SKIP_1) | instid1(VALU_DEP_3)
	v_fma_f64 v[244:245], v[0:1], v[10:11], v[86:87]
	v_mul_f64_e32 v[10:11], v[74:75], v[74:75]
	v_fma_f64 v[12:13], v[0:1], v[12:13], v[202:203]
	s_delay_alu instid0(VALU_DEP_2) | instskip(NEXT) | instid1(VALU_DEP_1)
	v_fma_f64 v[10:11], v[68:69], v[68:69], v[10:11]
	v_fma_f64 v[10:11], v[70:71], v[70:71], v[10:11]
	s_delay_alu instid0(VALU_DEP_1)
	v_fma_f64 v[10:11], v[0:1], v[10:11], v[200:201]
	scratch_store_b128 off, v[160:163], off offset:1624 ; 16-byte Folded Spill
	v_dual_mov_b32 v160, v178 :: v_dual_mov_b32 v161, v179
	v_dual_mov_b32 v162, v166 :: v_dual_mov_b32 v163, v167
	scratch_store_b128 off, v[10:13], off offset:1672 ; 16-byte Folded Spill
	v_fma_f64 v[10:11], -v[180:181], v[118:119], v[82:83]
	v_fma_f64 v[12:13], -v[180:181], s[8:9], v[82:83]
	v_dual_mov_b32 v82, v118 :: v_dual_mov_b32 v83, v119
	s_delay_alu instid0(VALU_DEP_3) | instskip(NEXT) | instid1(VALU_DEP_3)
	v_fma_f64 v[122:123], v[28:29], -s[12:13], v[10:11]
	v_fma_f64 v[56:57], s[12:13], v[28:29], v[12:13]
	v_mul_f64_e32 v[10:11], v[130:131], v[36:37]
	v_mul_f64_e32 v[12:13], v[130:131], v[126:127]
	s_mov_b64 s[12:13], s[6:7]
	s_delay_alu instid0(VALU_DEP_4) | instskip(NEXT) | instid1(VALU_DEP_4)
	v_fma_f64 v[2:3], v[122:123], v[122:123], v[2:3]
	v_fma_f64 v[6:7], v[122:123], v[56:57], v[6:7]
	s_delay_alu instid0(VALU_DEP_4) | instskip(NEXT) | instid1(VALU_DEP_4)
	v_fma_f64 v[10:11], v[96:97], v[122:123], v[10:11]
	v_fma_f64 v[12:13], v[96:97], v[56:57], v[12:13]
	s_delay_alu instid0(VALU_DEP_4) | instskip(NEXT) | instid1(VALU_DEP_4)
	v_fma_f64 v[2:3], v[124:125], v[124:125], v[2:3]
	v_fma_f64 v[6:7], v[124:125], v[128:129], v[6:7]
	s_delay_alu instid0(VALU_DEP_4) | instskip(NEXT) | instid1(VALU_DEP_4)
	v_fma_f64 v[10:11], v[98:99], v[124:125], v[10:11]
	v_fma_f64 v[12:13], v[98:99], v[128:129], v[12:13]
	s_delay_alu instid0(VALU_DEP_2) | instskip(NEXT) | instid1(VALU_DEP_2)
	v_fma_f64 v[10:11], v[0:1], v[10:11], v[176:177]
	v_fma_f64 v[12:13], v[0:1], v[12:13], v[178:179]
	scratch_store_b128 off, v[10:13], off offset:1704 ; 16-byte Folded Spill
	v_mul_f64_e32 v[10:11], v[14:15], v[36:37]
	v_mul_f64_e32 v[12:13], v[14:15], v[126:127]
	s_delay_alu instid0(VALU_DEP_2) | instskip(NEXT) | instid1(VALU_DEP_2)
	v_fma_f64 v[10:11], v[72:73], v[122:123], v[10:11]
	v_fma_f64 v[12:13], v[72:73], v[56:57], v[12:13]
	s_delay_alu instid0(VALU_DEP_2) | instskip(NEXT) | instid1(VALU_DEP_2)
	v_fma_f64 v[10:11], v[150:151], v[124:125], v[10:11]
	v_fma_f64 v[12:13], v[150:151], v[128:129], v[12:13]
	s_delay_alu instid0(VALU_DEP_2) | instskip(NEXT) | instid1(VALU_DEP_2)
	v_fma_f64 v[10:11], v[0:1], v[10:11], v[164:165]
	v_fma_f64 v[12:13], v[0:1], v[12:13], v[166:167]
	s_clause 0x1
	scratch_store_b128 off, v[10:13], off offset:1656
	scratch_store_b128 off, v[176:179], off offset:432
	v_fma_f64 v[10:11], v[0:1], v[2:3], v[104:105]
	v_fma_f64 v[12:13], v[0:1], v[6:7], v[106:107]
	v_dual_mov_b32 v178, v164 :: v_dual_mov_b32 v179, v165
	v_mul_f64_e32 v[2:3], s[10:11], v[184:185]
	v_mul_f64_e64 v[6:7], v[184:185], -s[10:11]
	s_clause 0x2
	scratch_store_b128 off, v[164:167], off offset:528
	scratch_store_b128 off, v[104:107], off offset:624
	;; [unrolled: 1-line block ×3, first 2 shown]
	v_dual_mov_b32 v104, v102 :: v_dual_mov_b32 v105, v103
	v_dual_mov_b32 v106, v154 :: v_dual_mov_b32 v107, v155
	;; [unrolled: 1-line block ×3, first 2 shown]
	scratch_store_b128 off, v[10:13], off offset:1184 ; 16-byte Folded Spill
	v_mul_f64_e32 v[10:11], s[10:11], v[182:183]
	v_mul_f64_e64 v[12:13], v[182:183], -s[10:11]
	v_fma_f64 v[2:3], v[118:119], v[180:181], v[2:3]
	v_fma_f64 v[6:7], s[8:9], v[180:181], v[6:7]
	s_delay_alu instid0(VALU_DEP_4) | instskip(NEXT) | instid1(VALU_DEP_4)
	v_fma_f64 v[10:11], v[118:119], v[32:33], v[10:11]
	v_fma_f64 v[12:13], s[8:9], v[32:33], v[12:13]
	v_mul_f64_e32 v[32:33], s[10:11], v[34:35]
	v_mul_f64_e64 v[34:35], v[34:35], -s[10:11]
	v_fma_f64 v[250:251], v[28:29], 0, v[2:3]
	v_fma_f64 v[190:191], v[28:29], 0, v[6:7]
	v_mul_f64_e32 v[28:29], v[50:51], v[36:37]
	v_fma_f64 v[252:253], v[26:27], 0, v[10:11]
	v_fma_f64 v[254:255], v[26:27], 0, v[12:13]
	;; [unrolled: 1-line block ×5, first 2 shown]
	v_mul_f64_e32 v[2:3], v[16:17], v[252:253]
	v_mul_f64_e32 v[6:7], v[16:17], v[254:255]
	v_fma_f64 v[10:11], v[24:25], 0, v[32:33]
	v_fma_f64 v[12:13], v[24:25], 0, v[30:31]
	v_mul_f64_e32 v[30:31], v[50:51], v[126:127]
	v_fma_f64 v[28:29], v[48:49], v[124:125], v[28:29]
	v_fma_f64 v[2:3], v[66:67], v[250:251], v[2:3]
	;; [unrolled: 1-line block ×3, first 2 shown]
	s_delay_alu instid0(VALU_DEP_4) | instskip(NEXT) | instid1(VALU_DEP_3)
	v_fma_f64 v[30:31], v[62:63], v[56:57], v[30:31]
	v_fma_f64 v[2:3], v[64:65], v[10:11], v[2:3]
	s_delay_alu instid0(VALU_DEP_3) | instskip(NEXT) | instid1(VALU_DEP_3)
	v_fma_f64 v[6:7], v[64:65], v[12:13], v[6:7]
	v_fma_f64 v[30:31], v[48:49], v[128:129], v[30:31]
	s_delay_alu instid0(VALU_DEP_3) | instskip(NEXT) | instid1(VALU_DEP_3)
	v_fma_f64 v[24:25], v[0:1], v[2:3], v[100:101]
	v_fma_f64 v[26:27], v[0:1], v[6:7], v[102:103]
	v_mul_f64_e32 v[2:3], v[210:211], v[252:253]
	v_mul_f64_e32 v[6:7], v[210:211], v[254:255]
	scratch_store_b128 off, v[24:27], off offset:1200 ; 16-byte Folded Spill
	v_fma_f64 v[2:3], v[38:39], v[250:251], v[2:3]
	v_fma_f64 v[6:7], v[38:39], v[190:191], v[6:7]
	s_delay_alu instid0(VALU_DEP_2) | instskip(NEXT) | instid1(VALU_DEP_2)
	v_fma_f64 v[2:3], v[112:113], v[10:11], v[2:3]
	v_fma_f64 v[6:7], v[112:113], v[12:13], v[6:7]
	s_delay_alu instid0(VALU_DEP_2) | instskip(NEXT) | instid1(VALU_DEP_2)
	v_fma_f64 v[24:25], v[0:1], v[2:3], v[152:153]
	v_fma_f64 v[26:27], v[0:1], v[6:7], v[154:155]
	s_clause 0x1
	scratch_store_b128 off, v[24:27], off offset:1736
	scratch_store_b128 off, v[100:103], off offset:848
	scratch_load_b128 v[24:27], off, off offset:1224 th:TH_LOAD_LU ; 16-byte Folded Reload
	v_mul_f64_e32 v[2:3], v[4:5], v[4:5]
	v_mul_f64_e32 v[6:7], v[252:253], v[254:255]
	s_clause 0x1
	scratch_store_b128 off, v[152:155], off offset:944
	scratch_store_b128 off, v[114:117], off offset:1040
	v_dual_mov_b32 v102, v152 :: v_dual_mov_b32 v103, v153
	v_fma_f64 v[2:3], v[8:9], v[8:9], v[2:3]
	v_fma_f64 v[6:7], v[250:251], v[190:191], v[6:7]
	v_mul_f64_e32 v[8:9], v[50:51], v[14:15]
	s_delay_alu instid0(VALU_DEP_3) | instskip(NEXT) | instid1(VALU_DEP_3)
	v_fma_f64 v[2:3], v[84:85], v[84:85], v[2:3]
	v_fma_f64 v[6:7], v[10:11], v[12:13], v[6:7]
	s_delay_alu instid0(VALU_DEP_3) | instskip(NEXT) | instid1(VALU_DEP_3)
	v_fma_f64 v[8:9], v[62:63], v[72:73], v[8:9]
	v_fma_f64 v[60:61], v[0:1], v[2:3], v[134:135]
	v_mul_f64_e32 v[2:3], v[252:253], v[252:253]
	s_delay_alu instid0(VALU_DEP_4) | instskip(SKIP_2) | instid1(VALU_DEP_4)
	v_fma_f64 v[4:5], v[0:1], v[6:7], v[116:117]
	v_mul_f64_e32 v[6:7], v[50:51], v[130:131]
	v_fma_f64 v[8:9], v[48:49], v[150:151], v[8:9]
	v_fma_f64 v[2:3], v[250:251], v[250:251], v[2:3]
	s_delay_alu instid0(VALU_DEP_3) | instskip(NEXT) | instid1(VALU_DEP_2)
	v_fma_f64 v[6:7], v[62:63], v[96:97], v[6:7]
	v_fma_f64 v[2:3], v[10:11], v[10:11], v[2:3]
	s_delay_alu instid0(VALU_DEP_2) | instskip(NEXT) | instid1(VALU_DEP_2)
	v_fma_f64 v[6:7], v[48:49], v[98:99], v[6:7]
	v_fma_f64 v[2:3], v[0:1], v[2:3], v[114:115]
	scratch_store_b128 off, v[2:5], off offset:1152 ; 16-byte Folded Spill
	s_wait_loadcnt 0x0
	v_fma_f64 v[2:3], v[0:1], v[6:7], v[24:25]
	v_fma_f64 v[4:5], v[0:1], v[8:9], v[26:27]
	v_mul_f64_e32 v[6:7], v[240:241], v[130:131]
	v_mul_f64_e32 v[8:9], v[240:241], v[14:15]
	scratch_store_b128 off, v[2:5], off offset:1752 ; 16-byte Folded Spill
	v_fma_f64 v[6:7], v[188:189], v[96:97], v[6:7]
	v_fma_f64 v[8:9], v[188:189], v[72:73], v[8:9]
	s_delay_alu instid0(VALU_DEP_2) | instskip(NEXT) | instid1(VALU_DEP_2)
	v_fma_f64 v[6:7], v[76:77], v[98:99], v[6:7]
	v_fma_f64 v[8:9], v[76:77], v[150:151], v[8:9]
	s_delay_alu instid0(VALU_DEP_2) | instskip(NEXT) | instid1(VALU_DEP_2)
	v_fma_f64 v[2:3], v[0:1], v[6:7], v[52:53]
	v_fma_f64 v[4:5], v[0:1], v[8:9], v[54:55]
	s_clause 0x1
	scratch_store_b128 off, v[2:5], off offset:1720
	scratch_store_b128 off, v[24:27], off offset:32
	s_clause 0x1
	scratch_load_b128 v[40:43], off, off offset:1240 th:TH_LOAD_LU
	scratch_load_b128 v[32:35], off, off offset:1480 th:TH_LOAD_LU
	v_dual_mov_b32 v8, v54 :: v_dual_mov_b32 v9, v55
	v_dual_mov_b32 v6, v26 :: v_dual_mov_b32 v7, v27
	;; [unrolled: 1-line block ×3, first 2 shown]
	s_wait_loadcnt 0x1
	v_fma_f64 v[2:3], v[0:1], v[28:29], v[40:41]
	v_fma_f64 v[4:5], v[0:1], v[30:31], v[42:43]
	v_mul_f64_e32 v[28:29], v[240:241], v[36:37]
	v_mul_f64_e32 v[30:31], v[240:241], v[126:127]
	scratch_store_b128 off, v[52:55], off offset:128
	v_dual_mov_b32 v88, v42 :: v_dual_mov_b32 v89, v43
	s_wait_loadcnt 0x0
	v_dual_mov_b32 v90, v34 :: v_dual_mov_b32 v91, v35
	scratch_store_b128 off, v[2:5], off offset:1224 ; 16-byte Folded Spill
	v_fma_f64 v[28:29], v[188:189], v[122:123], v[28:29]
	v_fma_f64 v[30:31], v[188:189], v[56:57], v[30:31]
	s_delay_alu instid0(VALU_DEP_2) | instskip(NEXT) | instid1(VALU_DEP_2)
	v_fma_f64 v[28:29], v[76:77], v[124:125], v[28:29]
	v_fma_f64 v[30:31], v[76:77], v[128:129], v[30:31]
	s_delay_alu instid0(VALU_DEP_2) | instskip(NEXT) | instid1(VALU_DEP_2)
	v_fma_f64 v[2:3], v[0:1], v[28:29], v[32:33]
	v_fma_f64 v[4:5], v[0:1], v[30:31], v[34:35]
	s_clause 0x1
	scratch_store_b128 off, v[2:5], off offset:1768
	scratch_store_b128 off, v[40:43], off offset:48
	v_dual_mov_b32 v42, v32 :: v_dual_mov_b32 v43, v33
	s_clause 0x1
	scratch_load_b128 v[44:47], off, off offset:1352 th:TH_LOAD_LU
	scratch_load_b128 v[212:215], off, off offset:1336 th:TH_LOAD_LU
	scratch_store_b128 off, v[32:35], off offset:144
	scratch_load_b128 v[32:35], off, off offset:1464 th:TH_LOAD_LU ; 16-byte Folded Reload
	v_mul_f64_e32 v[28:29], v[50:51], v[16:17]
	v_mul_f64_e32 v[30:31], v[50:51], v[210:211]
	s_clause 0x1
	scratch_load_b128 v[132:135], off, off offset:1400 th:TH_LOAD_LU
	scratch_load_b128 v[152:155], off, off offset:1384 th:TH_LOAD_LU
	scratch_store_b128 off, v[216:219], off offset:544
	s_clause 0x1
	scratch_load_b128 v[114:117], off, off offset:1288 th:TH_LOAD_LU
	scratch_load_b128 v[146:149], off, off offset:1304 th:TH_LOAD_LU
	scratch_store_b128 off, v[108:111], off offset:736
	v_fma_f64 v[28:29], v[62:63], v[66:67], v[28:29]
	v_fma_f64 v[30:31], v[62:63], v[38:39], v[30:31]
	s_delay_alu instid0(VALU_DEP_2) | instskip(NEXT) | instid1(VALU_DEP_2)
	v_fma_f64 v[28:29], v[48:49], v[64:65], v[28:29]
	v_fma_f64 v[30:31], v[48:49], v[112:113], v[30:31]
	s_wait_loadcnt 0x6
	scratch_store_b128 off, v[44:47], off offset:160
	v_dual_mov_b32 v86, v46 :: v_dual_mov_b32 v87, v47
	s_wait_loadcnt 0x4
	v_fma_f64 v[2:3], v[0:1], v[28:29], v[32:33]
	v_fma_f64 v[4:5], v[0:1], v[30:31], v[34:35]
	v_mul_f64_e32 v[28:29], v[240:241], v[16:17]
	v_mul_f64_e32 v[30:31], v[240:241], v[210:211]
	scratch_store_b128 off, v[32:35], off offset:64
	v_dual_mov_b32 v84, v34 :: v_dual_mov_b32 v85, v35
	s_wait_loadcnt 0x1
	scratch_store_b128 off, v[114:117], off offset:176
	v_dual_mov_b32 v54, v116 :: v_dual_mov_b32 v55, v117
	scratch_store_b128 off, v[212:215], off offset:224
	v_dual_mov_b32 v142, v214 :: v_dual_mov_b32 v143, v215
	;; [unrolled: 2-line block ×4, first 2 shown]
	s_wait_loadcnt 0x0
	s_clause 0x1
	scratch_store_b128 off, v[146:149], off offset:256
	scratch_store_b128 off, v[2:5], off offset:1240
	v_fma_f64 v[28:29], v[188:189], v[66:67], v[28:29]
	v_fma_f64 v[30:31], v[188:189], v[38:39], v[30:31]
	s_delay_alu instid0(VALU_DEP_2) | instskip(NEXT) | instid1(VALU_DEP_2)
	v_fma_f64 v[28:29], v[76:77], v[64:65], v[28:29]
	v_fma_f64 v[30:31], v[76:77], v[112:113], v[30:31]
	s_delay_alu instid0(VALU_DEP_2) | instskip(NEXT) | instid1(VALU_DEP_2)
	v_fma_f64 v[220:221], v[0:1], v[28:29], v[44:45]
	v_fma_f64 v[222:223], v[0:1], v[30:31], v[46:47]
	v_dual_mov_b32 v28, v32 :: v_dual_mov_b32 v29, v33
	v_dual_mov_b32 v30, v34 :: v_dual_mov_b32 v31, v35
	v_mul_f64_e32 v[32:33], v[50:51], v[252:253]
	v_mul_f64_e32 v[34:35], v[50:51], v[254:255]
	v_dual_mov_b32 v30, v44 :: v_dual_mov_b32 v31, v45
	v_mul_f64_e32 v[44:45], v[240:241], v[252:253]
	v_mul_f64_e32 v[46:47], v[240:241], v[254:255]
	v_fma_f64 v[32:33], v[62:63], v[250:251], v[32:33]
	v_fma_f64 v[34:35], v[62:63], v[190:191], v[34:35]
	v_mul_f64_e32 v[62:63], v[74:75], v[252:253]
	v_fma_f64 v[44:45], v[188:189], v[250:251], v[44:45]
	v_fma_f64 v[46:47], v[188:189], v[190:191], v[46:47]
	;; [unrolled: 1-line block ×4, first 2 shown]
	scratch_load_b128 v[48:51], off, off offset:1256 th:TH_LOAD_LU ; 16-byte Folded Reload
	v_fma_f64 v[62:63], v[68:69], v[250:251], v[62:63]
	v_fma_f64 v[44:45], v[76:77], v[10:11], v[44:45]
	v_fma_f64 v[46:47], v[76:77], v[12:13], v[46:47]
	s_delay_alu instid0(VALU_DEP_3) | instskip(NEXT) | instid1(VALU_DEP_3)
	v_fma_f64 v[62:63], v[70:71], v[10:11], v[62:63]
	v_fma_f64 v[200:201], v[0:1], v[44:45], v[114:115]
	s_delay_alu instid0(VALU_DEP_3)
	v_fma_f64 v[202:203], v[0:1], v[46:47], v[116:117]
	s_wait_loadcnt 0x0
	v_dual_mov_b32 v44, v48 :: v_dual_mov_b32 v45, v49
	v_dual_mov_b32 v46, v50 :: v_dual_mov_b32 v47, v51
	scratch_store_b128 off, v[48:51], off offset:80
	v_dual_mov_b32 v46, v114 :: v_dual_mov_b32 v47, v115
	scratch_load_b128 v[114:117], off, off offset:1416 th:TH_LOAD_LU ; 16-byte Folded Reload
	v_fma_f64 v[78:79], v[0:1], v[32:33], v[48:49]
	v_fma_f64 v[80:81], v[0:1], v[34:35], v[50:51]
	v_dual_mov_b32 v52, v50 :: v_dual_mov_b32 v53, v51
	v_mul_f64_e32 v[48:49], v[74:75], v[130:131]
	v_mul_f64_e32 v[50:51], v[74:75], v[14:15]
	s_delay_alu instid0(VALU_DEP_2) | instskip(NEXT) | instid1(VALU_DEP_2)
	v_fma_f64 v[48:49], v[68:69], v[96:97], v[48:49]
	v_fma_f64 v[50:51], v[68:69], v[72:73], v[50:51]
	s_delay_alu instid0(VALU_DEP_2) | instskip(NEXT) | instid1(VALU_DEP_2)
	v_fma_f64 v[48:49], v[70:71], v[98:99], v[48:49]
	v_fma_f64 v[50:51], v[70:71], v[150:151], v[50:51]
	;; [unrolled: 3-line block ×3, first 2 shown]
	v_mul_f64_e32 v[48:49], v[22:23], v[130:131]
	v_mul_f64_e32 v[50:51], v[22:23], v[14:15]
	s_delay_alu instid0(VALU_DEP_2) | instskip(NEXT) | instid1(VALU_DEP_2)
	v_fma_f64 v[48:49], v[20:21], v[96:97], v[48:49]
	v_fma_f64 v[50:51], v[20:21], v[72:73], v[50:51]
	s_delay_alu instid0(VALU_DEP_2) | instskip(NEXT) | instid1(VALU_DEP_2)
	v_fma_f64 v[48:49], v[18:19], v[98:99], v[48:49]
	v_fma_f64 v[50:51], v[18:19], v[150:151], v[50:51]
	s_wait_loadcnt 0x0
	s_delay_alu instid0(VALU_DEP_2) | instskip(NEXT) | instid1(VALU_DEP_2)
	v_fma_f64 v[224:225], v[0:1], v[48:49], v[114:115]
	v_fma_f64 v[226:227], v[0:1], v[50:51], v[116:117]
	scratch_store_b128 off, v[114:117], off offset:320
	v_dual_mov_b32 v144, v116 :: v_dual_mov_b32 v145, v117
	v_dual_mov_b32 v214, v114 :: v_dual_mov_b32 v215, v115
	scratch_load_b128 v[114:117], off, off offset:1320 th:TH_LOAD_LU ; 16-byte Folded Reload
	v_mul_f64_e32 v[48:49], v[74:75], v[36:37]
	v_mul_f64_e32 v[50:51], v[74:75], v[126:127]
	s_delay_alu instid0(VALU_DEP_2) | instskip(NEXT) | instid1(VALU_DEP_2)
	v_fma_f64 v[48:49], v[68:69], v[122:123], v[48:49]
	v_fma_f64 v[50:51], v[68:69], v[56:57], v[50:51]
	s_delay_alu instid0(VALU_DEP_2) | instskip(NEXT) | instid1(VALU_DEP_2)
	v_fma_f64 v[48:49], v[70:71], v[124:125], v[48:49]
	v_fma_f64 v[50:51], v[70:71], v[128:129], v[50:51]
	s_wait_loadcnt 0x0
	s_delay_alu instid0(VALU_DEP_2) | instskip(NEXT) | instid1(VALU_DEP_2)
	v_fma_f64 v[2:3], v[0:1], v[48:49], v[114:115]
	v_fma_f64 v[4:5], v[0:1], v[50:51], v[116:117]
	v_mul_f64_e32 v[48:49], v[22:23], v[36:37]
	v_mul_f64_e32 v[50:51], v[22:23], v[126:127]
	scratch_store_b128 off, v[114:117], off offset:240
	v_dual_mov_b32 v138, v116 :: v_dual_mov_b32 v139, v117
	v_dual_mov_b32 v116, v132 :: v_dual_mov_b32 v117, v133
	v_fma_f64 v[48:49], v[20:21], v[122:123], v[48:49]
	v_fma_f64 v[50:51], v[20:21], v[56:57], v[50:51]
	s_delay_alu instid0(VALU_DEP_2) | instskip(NEXT) | instid1(VALU_DEP_2)
	v_fma_f64 v[48:49], v[18:19], v[124:125], v[48:49]
	v_fma_f64 v[50:51], v[18:19], v[128:129], v[50:51]
	s_delay_alu instid0(VALU_DEP_2) | instskip(NEXT) | instid1(VALU_DEP_2)
	v_fma_f64 v[176:177], v[0:1], v[48:49], v[132:133]
	v_fma_f64 v[178:179], v[0:1], v[50:51], v[134:135]
	v_mul_f64_e32 v[48:49], v[74:75], v[16:17]
	v_mul_f64_e32 v[50:51], v[74:75], v[210:211]
	v_dual_mov_b32 v134, v148 :: v_dual_mov_b32 v135, v149
	v_mul_f64_e32 v[74:75], v[74:75], v[254:255]
	s_delay_alu instid0(VALU_DEP_4) | instskip(NEXT) | instid1(VALU_DEP_4)
	v_fma_f64 v[48:49], v[68:69], v[66:67], v[48:49]
	v_fma_f64 v[50:51], v[68:69], v[38:39], v[50:51]
	s_delay_alu instid0(VALU_DEP_3) | instskip(SKIP_1) | instid1(VALU_DEP_4)
	v_fma_f64 v[68:69], v[68:69], v[190:191], v[74:75]
	v_mul_f64_e32 v[74:75], v[130:131], v[210:211]
	v_fma_f64 v[48:49], v[70:71], v[64:65], v[48:49]
	s_delay_alu instid0(VALU_DEP_4) | instskip(NEXT) | instid1(VALU_DEP_4)
	v_fma_f64 v[50:51], v[70:71], v[112:113], v[50:51]
	v_fma_f64 v[68:69], v[70:71], v[12:13], v[68:69]
	s_delay_alu instid0(VALU_DEP_4) | instskip(NEXT) | instid1(VALU_DEP_4)
	v_fma_f64 v[74:75], v[96:97], v[38:39], v[74:75]
	v_fma_f64 v[228:229], v[0:1], v[48:49], v[146:147]
	s_delay_alu instid0(VALU_DEP_4) | instskip(SKIP_3) | instid1(VALU_DEP_3)
	v_fma_f64 v[230:231], v[0:1], v[50:51], v[148:149]
	v_mul_f64_e32 v[48:49], v[22:23], v[16:17]
	v_mul_f64_e32 v[50:51], v[22:23], v[210:211]
	v_fma_f64 v[74:75], v[98:99], v[112:113], v[74:75]
	v_fma_f64 v[48:49], v[20:21], v[66:67], v[48:49]
	s_delay_alu instid0(VALU_DEP_3) | instskip(NEXT) | instid1(VALU_DEP_2)
	v_fma_f64 v[50:51], v[20:21], v[38:39], v[50:51]
	v_fma_f64 v[48:49], v[18:19], v[64:65], v[48:49]
	s_delay_alu instid0(VALU_DEP_2) | instskip(NEXT) | instid1(VALU_DEP_2)
	v_fma_f64 v[50:51], v[18:19], v[112:113], v[50:51]
	v_fma_f64 v[172:173], v[0:1], v[48:49], v[152:153]
	s_delay_alu instid0(VALU_DEP_2)
	v_fma_f64 v[174:175], v[0:1], v[50:51], v[154:155]
	v_dual_mov_b32 v48, v146 :: v_dual_mov_b32 v49, v147
	v_dual_mov_b32 v50, v148 :: v_dual_mov_b32 v51, v149
	;; [unrolled: 1-line block ×3, first 2 shown]
	s_clause 0x1
	scratch_load_b128 v[152:155], off, off offset:1272 th:TH_LOAD_LU
	scratch_load_b128 v[146:149], off, off offset:1368 th:TH_LOAD_LU
	s_wait_loadcnt 0x1
	v_fma_f64 v[232:233], v[0:1], v[62:63], v[152:153]
	v_fma_f64 v[234:235], v[0:1], v[68:69], v[154:155]
	v_mul_f64_e32 v[62:63], v[22:23], v[252:253]
	v_mul_f64_e32 v[68:69], v[22:23], v[254:255]
	scratch_store_b128 off, v[152:155], off offset:272
	s_wait_loadcnt 0x0
	scratch_store_b128 off, v[146:149], off offset:368
	v_dual_mov_b32 v70, v148 :: v_dual_mov_b32 v71, v149
	v_fma_f64 v[62:63], v[20:21], v[250:251], v[62:63]
	v_fma_f64 v[68:69], v[20:21], v[190:191], v[68:69]
	s_delay_alu instid0(VALU_DEP_2) | instskip(NEXT) | instid1(VALU_DEP_2)
	v_fma_f64 v[62:63], v[18:19], v[10:11], v[62:63]
	v_fma_f64 v[68:69], v[18:19], v[12:13], v[68:69]
	s_delay_alu instid0(VALU_DEP_2) | instskip(NEXT) | instid1(VALU_DEP_2)
	v_fma_f64 v[168:169], v[0:1], v[62:63], v[146:147]
	v_fma_f64 v[170:171], v[0:1], v[68:69], v[148:149]
	v_dual_mov_b32 v68, v154 :: v_dual_mov_b32 v69, v155
	v_dual_mov_b32 v154, v146 :: v_dual_mov_b32 v155, v147
	scratch_load_b128 v[146:149], off, off offset:1448 th:TH_LOAD_LU ; 16-byte Folded Reload
	v_mul_f64_e32 v[62:63], v[130:131], v[16:17]
	s_delay_alu instid0(VALU_DEP_1) | instskip(NEXT) | instid1(VALU_DEP_1)
	v_fma_f64 v[62:63], v[96:97], v[66:67], v[62:63]
	v_fma_f64 v[62:63], v[98:99], v[64:65], v[62:63]
	s_wait_loadcnt 0x0
	s_delay_alu instid0(VALU_DEP_1)
	v_fma_f64 v[32:33], v[0:1], v[62:63], v[146:147]
	v_fma_f64 v[34:35], v[0:1], v[74:75], v[148:149]
	v_mul_f64_e32 v[62:63], v[14:15], v[16:17]
	v_mul_f64_e32 v[74:75], v[14:15], v[210:211]
	v_dual_mov_b32 v118, v146 :: v_dual_mov_b32 v119, v147
	v_dual_mov_b32 v120, v148 :: v_dual_mov_b32 v121, v149
	;; [unrolled: 1-line block ×4, first 2 shown]
	v_fma_f64 v[62:63], v[72:73], v[66:67], v[62:63]
	v_fma_f64 v[74:75], v[72:73], v[38:39], v[74:75]
	s_delay_alu instid0(VALU_DEP_2) | instskip(NEXT) | instid1(VALU_DEP_2)
	v_fma_f64 v[62:63], v[150:151], v[64:65], v[62:63]
	v_fma_f64 v[74:75], v[150:151], v[112:113], v[74:75]
	s_delay_alu instid0(VALU_DEP_2) | instskip(NEXT) | instid1(VALU_DEP_2)
	v_fma_f64 v[196:197], v[0:1], v[62:63], v[216:217]
	v_fma_f64 v[198:199], v[0:1], v[74:75], v[218:219]
	v_mul_f64_e32 v[62:63], v[130:131], v[252:253]
	v_mul_f64_e32 v[74:75], v[130:131], v[254:255]
	scratch_load_b128 v[130:133], off, off offset:1432 th:TH_LOAD_LU ; 16-byte Folded Reload
	scratch_store_b128 off, v[146:149], off offset:448
	v_fma_f64 v[62:63], v[96:97], v[250:251], v[62:63]
	v_fma_f64 v[74:75], v[96:97], v[190:191], v[74:75]
	s_delay_alu instid0(VALU_DEP_2) | instskip(NEXT) | instid1(VALU_DEP_2)
	v_fma_f64 v[62:63], v[98:99], v[10:11], v[62:63]
	v_fma_f64 v[74:75], v[98:99], v[12:13], v[74:75]
	v_dual_mov_b32 v96, v206 :: v_dual_mov_b32 v97, v207
	v_dual_mov_b32 v98, v208 :: v_dual_mov_b32 v99, v209
	s_delay_alu instid0(VALU_DEP_1)
	v_dual_mov_b32 v148, v98 :: v_dual_mov_b32 v149, v99
	scratch_store_b128 off, v[96:99], off offset:560
	s_wait_loadcnt 0x0
	v_fma_f64 v[216:217], v[0:1], v[62:63], v[130:131]
	v_fma_f64 v[218:219], v[0:1], v[74:75], v[132:133]
	v_mul_f64_e32 v[62:63], v[14:15], v[252:253]
	v_mul_f64_e32 v[74:75], v[14:15], v[254:255]
	scratch_store_b128 off, v[130:133], off offset:464
	v_dual_mov_b32 v146, v132 :: v_dual_mov_b32 v147, v133
	v_dual_mov_b32 v132, v96 :: v_dual_mov_b32 v133, v97
	v_fma_f64 v[62:63], v[72:73], v[250:251], v[62:63]
	v_fma_f64 v[74:75], v[72:73], v[190:191], v[74:75]
	s_delay_alu instid0(VALU_DEP_2) | instskip(NEXT) | instid1(VALU_DEP_2)
	v_fma_f64 v[62:63], v[150:151], v[10:11], v[62:63]
	v_fma_f64 v[74:75], v[150:151], v[12:13], v[74:75]
	s_delay_alu instid0(VALU_DEP_2) | instskip(NEXT) | instid1(VALU_DEP_2)
	v_fma_f64 v[206:207], v[0:1], v[62:63], v[96:97]
	v_fma_f64 v[208:209], v[0:1], v[74:75], v[98:99]
	scratch_load_b128 v[96:99], off, off offset:1512 th:TH_LOAD_LU ; 16-byte Folded Reload
	v_mul_f64_e32 v[62:63], v[36:37], v[16:17]
	v_mul_f64_e32 v[16:17], v[126:127], v[16:17]
	s_delay_alu instid0(VALU_DEP_2) | instskip(NEXT) | instid1(VALU_DEP_2)
	v_fma_f64 v[62:63], v[122:123], v[66:67], v[62:63]
	v_fma_f64 v[16:17], v[56:57], v[66:67], v[16:17]
	v_mul_f64_e32 v[66:67], v[126:127], v[252:253]
	s_delay_alu instid0(VALU_DEP_3) | instskip(NEXT) | instid1(VALU_DEP_3)
	v_fma_f64 v[62:63], v[124:125], v[64:65], v[62:63]
	v_fma_f64 v[16:17], v[128:129], v[64:65], v[16:17]
	v_mul_f64_e32 v[64:65], v[36:37], v[210:211]
	s_delay_alu instid0(VALU_DEP_4) | instskip(NEXT) | instid1(VALU_DEP_3)
	v_fma_f64 v[66:67], v[56:57], v[250:251], v[66:67]
	v_fma_f64 v[180:181], v[0:1], v[16:17], v[108:109]
	v_mul_f64_e32 v[16:17], v[36:37], v[252:253]
	v_mul_f64_e32 v[36:37], v[36:37], v[254:255]
	v_fma_f64 v[64:65], v[122:123], v[38:39], v[64:65]
	s_delay_alu instid0(VALU_DEP_3) | instskip(NEXT) | instid1(VALU_DEP_3)
	v_fma_f64 v[16:17], v[122:123], v[250:251], v[16:17]
	v_fma_f64 v[36:37], v[122:123], v[190:191], v[36:37]
	s_delay_alu instid0(VALU_DEP_3) | instskip(NEXT) | instid1(VALU_DEP_3)
	v_fma_f64 v[64:65], v[124:125], v[112:113], v[64:65]
	v_fma_f64 v[16:17], v[124:125], v[10:11], v[16:17]
	s_delay_alu instid0(VALU_DEP_3)
	v_fma_f64 v[36:37], v[124:125], v[12:13], v[36:37]
	v_fma_f64 v[10:11], v[128:129], v[10:11], v[66:67]
	s_wait_loadcnt 0x0
	scratch_store_b128 off, v[96:99], off offset:640
	s_clause 0x1
	scratch_load_b64 v[66:67], off, off offset:1896
	scratch_load_b128 v[122:125], off, off offset:1496 th:TH_LOAD_LU
	v_fma_f64 v[184:185], v[0:1], v[62:63], v[96:97]
	v_mul_f64_e32 v[62:63], v[126:127], v[210:211]
	v_fma_f64 v[186:187], v[0:1], v[64:65], v[98:99]
	v_dual_mov_b32 v64, v110 :: v_dual_mov_b32 v65, v111
	scratch_store_b128 off, v[156:159], off offset:288
	scratch_load_b128 v[156:159], off, off offset:1704 ; 16-byte Folded Reload
	v_fma_f64 v[62:63], v[56:57], v[38:39], v[62:63]
	s_delay_alu instid0(VALU_DEP_1) | instskip(NEXT) | instid1(VALU_DEP_1)
	v_fma_f64 v[62:63], v[128:129], v[112:113], v[62:63]
	v_fma_f64 v[182:183], v[0:1], v[62:63], v[110:111]
	v_dual_mov_b32 v62, v98 :: v_dual_mov_b32 v63, v99
	v_dual_mov_b32 v98, v108 :: v_dual_mov_b32 v99, v109
	;; [unrolled: 1-line block ×4, first 2 shown]
	s_delay_alu instid0(VALU_DEP_2) | instskip(SKIP_4) | instid1(VALU_DEP_2)
	v_dual_mov_b32 v253, v111 :: v_dual_mov_b32 v252, v110
	scratch_store_b128 off, v[108:111], off offset:752
	v_fma_f64 v[92:93], v[0:1], v[10:11], v[108:109]
	v_mul_f64_e32 v[10:11], v[14:15], v[14:15]
	v_mul_f64_e32 v[14:15], v[126:127], v[126:127]
	v_fma_f64 v[10:11], v[72:73], v[72:73], v[10:11]
	s_delay_alu instid0(VALU_DEP_2) | instskip(NEXT) | instid1(VALU_DEP_2)
	v_fma_f64 v[14:15], v[56:57], v[56:57], v[14:15]
	v_fma_f64 v[10:11], v[150:151], v[150:151], v[10:11]
	s_delay_alu instid0(VALU_DEP_2)
	v_fma_f64 v[14:15], v[128:129], v[128:129], v[14:15]
	s_wait_loadcnt 0x1
	v_fma_f64 v[194:195], v[0:1], v[36:37], v[124:125]
	scratch_load_b64 v[36:37], off, off offset:2000 ; 8-byte Folded Reload
	s_clause 0x4
	scratch_store_b128 off, v[122:125], off offset:656
	scratch_store_b128 off, v[6:9], off offset:480
	;; [unrolled: 1-line block ×5, first 2 shown]
	v_mul_f64_e32 v[8:9], v[22:23], v[22:23]
	v_fma_f64 v[192:193], v[0:1], v[16:17], v[122:123]
	v_mul_f64_e32 v[16:17], v[126:127], v[254:255]
	v_mul_f64_e32 v[6:7], v[240:241], v[240:241]
	v_dual_mov_b32 v250, v124 :: v_dual_mov_b32 v251, v125
	scratch_load_b128 v[140:143], off, off offset:1200 ; 16-byte Folded Reload
	s_clause 0x1
	scratch_store_b128 off, v[84:87], off offset:864
	scratch_store_b128 off, v[134:137], off offset:880
	scratch_load_b128 v[136:139], off, off offset:1736 ; 16-byte Folded Reload
	s_clause 0x1
	scratch_store_b128 off, v[52:55], off offset:1056
	scratch_store_b128 off, v[68:71], off offset:1072
	s_clause 0x1
	scratch_load_b64 v[70:71], off, off offset:1952
	scratch_load_b64 v[68:69], off, off offset:1904
	s_clause 0x1
	scratch_store_b128 off, v[160:163], off offset:704
	scratch_store_b128 off, v[164:167], off offset:896
	v_dual_mov_b32 v167, v35 :: v_dual_mov_b32 v166, v34
	scratch_store_b128 off, v[62:65], off offset:912
	v_dual_mov_b32 v165, v33 :: v_dual_mov_b32 v164, v32
	s_clause 0x2
	scratch_load_b128 v[32:35], off, off offset:1672
	scratch_load_b64 v[64:65], off, off offset:1888
	scratch_load_b64 v[62:63], off, off offset:1880
	s_clause 0x1
	scratch_store_b128 off, v[146:149], off offset:1088
	scratch_store_b128 off, v[250:253], off offset:1104
	v_dual_mov_b32 v253, v5 :: v_dual_mov_b32 v252, v4
	scratch_store_b128 off, v[104:107], off offset:1120
	s_clause 0x1
	scratch_load_b128 v[144:147], off, off offset:1184
	scratch_load_b64 v[74:75], off, off offset:1864
	v_dual_mov_b32 v251, v3 :: v_dual_mov_b32 v250, v2
	s_clause 0x2
	scratch_load_b64 v[22:23], off, off offset:1936
	scratch_load_b64 v[72:73], off, off offset:1968
	;; [unrolled: 1-line block ×3, first 2 shown]
	v_dual_mov_b32 v124, v108 :: v_dual_mov_b32 v125, v109
	v_fma_f64 v[8:9], v[20:21], v[20:21], v[8:9]
	v_mul_f64_e32 v[20:21], v[254:255], v[254:255]
	v_fma_f64 v[16:17], v[56:57], v[190:191], v[16:17]
	v_fma_f64 v[6:7], v[188:189], v[188:189], v[6:7]
	s_delay_alu instid0(VALU_DEP_4) | instskip(NEXT) | instid1(VALU_DEP_4)
	v_fma_f64 v[8:9], v[18:19], v[18:19], v[8:9]
	v_fma_f64 v[20:21], v[190:191], v[190:191], v[20:21]
	s_delay_alu instid0(VALU_DEP_4)
	v_fma_f64 v[16:17], v[128:129], v[12:13], v[16:17]
	s_clause 0x3
	scratch_load_b128 v[188:191], off, off offset:1752
	scratch_load_b128 v[160:163], off, off offset:1640
	scratch_load_b64 v[18:19], off, off offset:1928
	scratch_load_b128 v[126:129], off, off offset:1576
	v_fma_f64 v[6:7], v[76:77], v[76:77], v[6:7]
	v_fma_f64 v[86:87], v[0:1], v[8:9], v[244:245]
	v_fma_f64 v[12:13], v[12:13], v[12:13], v[20:21]
	s_clause 0x2
	scratch_load_b64 v[20:21], off, off offset:1920
	scratch_load_b128 v[52:55], off, off offset:1544 th:TH_LOAD_LU
	scratch_load_b128 v[2:5], off, off offset:1560 th:TH_LOAD_LU
	v_fma_f64 v[94:95], v[0:1], v[16:17], v[110:111]
	v_mul_f64_e32 v[16:17], v[210:211], v[210:211]
	s_clause 0x2
	scratch_store_b128 off, v[242:245], off offset:304
	scratch_store_b128 off, v[246:249], off offset:720
	;; [unrolled: 1-line block ×3, first 2 shown]
	v_fma_f64 v[134:135], v[0:1], v[12:13], v[60:61]
	scratch_load_b64 v[12:13], off, off offset:1856 ; 8-byte Folded Reload
	v_fma_f64 v[16:17], v[38:39], v[38:39], v[16:17]
	s_delay_alu instid0(VALU_DEP_1)
	v_fma_f64 v[16:17], v[112:113], v[112:113], v[16:17]
	s_wait_loadcnt 0xf
	v_dual_mov_b32 v84, v34 :: v_dual_mov_b32 v85, v35
	s_wait_loadcnt 0x4
	v_dual_mov_b32 v110, v128 :: v_dual_mov_b32 v111, v129
	s_wait_loadcnt 0x2
	scratch_store_b128 off, v[52:55], off offset:96
	s_wait_loadcnt 0x1
	scratch_store_b128 off, v[2:5], off offset:512
	v_fma_f64 v[112:113], v[0:1], v[10:11], v[4:5]
	s_clause 0x1
	scratch_load_b64 v[10:11], off, off offset:1848
	scratch_load_b128 v[2:5], off, off offset:1592 th:TH_LOAD_LU
	v_fma_f64 v[150:151], v[0:1], v[6:7], v[54:55]
	v_fma_f64 v[6:7], v[0:1], v[14:15], v[248:249]
	v_dual_mov_b32 v14, v238 :: v_dual_mov_b32 v15, v239
	v_dual_mov_b32 v52, v220 :: v_dual_mov_b32 v53, v221
	;; [unrolled: 1-line block ×3, first 2 shown]
	s_wait_loadcnt 0x0
	scratch_store_b128 off, v[2:5], off offset:928
	v_fma_f64 v[90:91], v[0:1], v[16:17], v[4:5]
	s_clause 0x1
	scratch_load_b128 v[58:61], off, off offset:1768
	scratch_load_b128 v[0:3], off, off offset:1624 th:TH_LOAD_LU
	v_dual_mov_b32 v16, v226 :: v_dual_mov_b32 v17, v227
	v_dual_mov_b32 v4, v146 :: v_dual_mov_b32 v5, v147
	s_wait_loadcnt 0x0
	s_clause 0x1
	scratch_store_b128 off, v[0:3], off offset:192
	scratch_store_b128 off, v[24:27], off offset:384
	s_clause 0x1
	scratch_load_b64 v[26:27], off, off offset:1976
	scratch_load_b64 v[24:25], off, off offset:1944
	s_clause 0x1
	scratch_store_b128 off, v[212:215], off offset:400
	scratch_store_b128 off, v[40:43], off offset:576
	s_clause 0x2
	scratch_load_b128 v[212:215], off, off offset:1224
	scratch_load_b64 v[42:43], off, off offset:2008
	scratch_load_b64 v[40:41], off, off offset:1960
	s_clause 0x1
	scratch_store_b128 off, v[114:117], off offset:592
	scratch_store_b128 off, v[28:31], off offset:768
	v_dual_mov_b32 v117, v81 :: v_dual_mov_b32 v116, v80
	v_dual_mov_b32 v115, v79 :: v_dual_mov_b32 v114, v78
	s_clause 0x2
	scratch_load_b128 v[76:79], off, off offset:1168
	scratch_load_b64 v[30:31], off, off offset:1992
	scratch_load_b64 v[28:29], off, off offset:1984
	s_clause 0x1
	scratch_store_b128 off, v[48:51], off offset:784
	scratch_store_b128 off, v[44:47], off offset:960
	s_clause 0x2
	scratch_load_b64 v[48:49], off, off offset:1216
	scratch_load_b64 v[46:47], off, off offset:2024
	;; [unrolled: 1-line block ×3, first 2 shown]
	scratch_store_b128 off, v[152:155], off offset:976
	s_clause 0x1
	scratch_load_b128 v[152:155], off, off offset:1656
	scratch_load_b128 v[0:3], off, off offset:1688 th:TH_LOAD_LU
	s_wait_loadcnt 0x0
	s_clause 0x1
	scratch_store_b128 off, v[0:3], off offset:608
	scratch_store_b128 off, v[118:121], off offset:800
	v_dual_mov_b32 v119, v83 :: v_dual_mov_b32 v118, v82
	scratch_load_b128 v[80:83], off, off offset:1608 ; 16-byte Folded Reload
	scratch_store_b128 off, v[96:99], off offset:816
	scratch_load_b128 v[96:99], off, off offset:1720 ; 16-byte Folded Reload
	s_clause 0x1
	scratch_store_b128 off, v[130:133], off offset:992
	scratch_store_b128 off, v[122:125], off offset:1008
	scratch_load_b128 v[120:123], off, off offset:1240 ; 16-byte Folded Reload
	v_dual_mov_b32 v0, v162 :: v_dual_mov_b32 v1, v163
	v_dual_mov_b32 v88, v78 :: v_dual_mov_b32 v89, v79
	s_wait_loadcnt 0x2
	v_dual_mov_b32 v2, v82 :: v_dual_mov_b32 v3, v83
	scratch_store_b128 off, v[100:103], off offset:1024
	scratch_load_b128 v[102:105], off, off offset:1528 ; 16-byte Folded Reload
	scratch_store_b128 off, v[0:3], off offset:288
	v_dual_mov_b32 v0, v190 :: v_dual_mov_b32 v1, v191
	s_wait_loadcnt 0x2
	v_dual_mov_b32 v2, v98 :: v_dual_mov_b32 v3, v99
	s_clause 0x1
	scratch_store_b128 off, v[0:3], off offset:480
	scratch_store_b128 off, v[14:17], off offset:496
	v_dual_mov_b32 v0, v214 :: v_dual_mov_b32 v1, v215
	v_dual_mov_b32 v2, v60 :: v_dual_mov_b32 v3, v61
	;; [unrolled: 1-line block ×4, first 2 shown]
	s_clause 0x1
	scratch_store_b128 off, v[0:3], off offset:672
	scratch_store_b128 off, v[14:17], off offset:688
	s_wait_loadcnt 0x1
	v_dual_mov_b32 v0, v122 :: v_dual_mov_b32 v1, v123
	v_dual_mov_b32 v2, v54 :: v_dual_mov_b32 v3, v55
	;; [unrolled: 1-line block ×4, first 2 shown]
	s_clause 0x1
	scratch_store_b128 off, v[0:3], off offset:864
	scratch_store_b128 off, v[14:17], off offset:880
	v_dual_mov_b32 v0, v116 :: v_dual_mov_b32 v1, v117
	v_dual_mov_b32 v2, v202 :: v_dual_mov_b32 v3, v203
	;; [unrolled: 1-line block ×4, first 2 shown]
	s_clause 0x1
	scratch_store_b128 off, v[0:3], off offset:1056
	scratch_store_b128 off, v[14:17], off offset:1072
	v_dual_mov_b32 v0, v158 :: v_dual_mov_b32 v1, v159
	v_dual_mov_b32 v2, v154 :: v_dual_mov_b32 v3, v155
	;; [unrolled: 1-line block ×4, first 2 shown]
	scratch_store_b128 off, v[0:3], off offset:704
	v_dual_mov_b32 v0, v166 :: v_dual_mov_b32 v1, v167
	v_dual_mov_b32 v2, v198 :: v_dual_mov_b32 v3, v199
	s_clause 0x1
	scratch_store_b128 off, v[0:3], off offset:896
	scratch_store_b128 off, v[14:17], off offset:912
	v_dual_mov_b32 v0, v218 :: v_dual_mov_b32 v1, v219
	v_dual_mov_b32 v2, v208 :: v_dual_mov_b32 v3, v209
	;; [unrolled: 1-line block ×4, first 2 shown]
	s_clause 0x1
	scratch_store_b128 off, v[0:3], off offset:1088
	scratch_store_b128 off, v[14:17], off offset:1104
	v_dual_mov_b32 v0, v142 :: v_dual_mov_b32 v1, v143
	v_dual_mov_b32 v2, v138 :: v_dual_mov_b32 v3, v139
	;; [unrolled: 1-line block ×4, first 2 shown]
	scratch_store_b128 off, v[0:3], off offset:1120
	v_dual_mov_b32 v0, v160 :: v_dual_mov_b32 v1, v161
	v_dual_mov_b32 v2, v162 :: v_dual_mov_b32 v3, v163
	;; [unrolled: 1-line block ×4, first 2 shown]
	scratch_load_b128 v[220:223], off, off offset:1152 ; 16-byte Folded Reload
	scratch_store_b128 off, v[0:3], off offset:192
	v_dual_mov_b32 v0, v188 :: v_dual_mov_b32 v1, v189
	v_dual_mov_b32 v2, v190 :: v_dual_mov_b32 v3, v191
	v_dual_mov_b32 v2, v96 :: v_dual_mov_b32 v3, v97
	s_clause 0x1
	scratch_store_b128 off, v[0:3], off offset:384
	scratch_store_b128 off, v[14:17], off offset:400
	v_dual_mov_b32 v0, v212 :: v_dual_mov_b32 v1, v213
	v_dual_mov_b32 v2, v214 :: v_dual_mov_b32 v3, v215
	v_dual_mov_b32 v14, v250 :: v_dual_mov_b32 v15, v251
	v_dual_mov_b32 v2, v58 :: v_dual_mov_b32 v3, v59
	v_dual_mov_b32 v16, v252 :: v_dual_mov_b32 v17, v253
	v_dual_mov_b32 v16, v176 :: v_dual_mov_b32 v17, v177
	s_clause 0x1
	scratch_store_b128 off, v[0:3], off offset:576
	scratch_store_b128 off, v[14:17], off offset:592
	v_dual_mov_b32 v0, v120 :: v_dual_mov_b32 v1, v121
	v_dual_mov_b32 v2, v122 :: v_dual_mov_b32 v3, v123
	v_dual_mov_b32 v14, v228 :: v_dual_mov_b32 v15, v229
	;; [unrolled: 9-line block ×4, first 2 shown]
	v_dual_mov_b32 v14, v184 :: v_dual_mov_b32 v15, v185
	v_dual_mov_b32 v16, v186 :: v_dual_mov_b32 v17, v187
	scratch_store_b128 off, v[0:3], off offset:608
	v_dual_mov_b32 v0, v164 :: v_dual_mov_b32 v1, v165
	v_dual_mov_b32 v2, v166 :: v_dual_mov_b32 v3, v167
	;; [unrolled: 1-line block ×4, first 2 shown]
	s_clause 0x1
	scratch_store_b128 off, v[0:3], off offset:800
	scratch_store_b128 off, v[14:17], off offset:816
	v_dual_mov_b32 v0, v216 :: v_dual_mov_b32 v1, v217
	v_dual_mov_b32 v2, v218 :: v_dual_mov_b32 v3, v219
	;; [unrolled: 1-line block ×6, first 2 shown]
	s_clause 0x1
	scratch_store_b128 off, v[0:3], off offset:992
	scratch_store_b128 off, v[14:17], off offset:1008
	scratch_load_b64 v[14:15], off, off offset:1912 ; 8-byte Folded Reload
	v_dual_mov_b32 v0, v140 :: v_dual_mov_b32 v1, v141
	v_dual_mov_b32 v2, v142 :: v_dual_mov_b32 v3, v143
	;; [unrolled: 1-line block ×3, first 2 shown]
	scratch_store_b128 off, v[0:3], off offset:1024
	v_cndmask_b32_e64 v0, 0, 1, s16
	s_mov_b32 s16, 0
	s_wait_loadcnt 0x2
	s_clause 0x5
	scratch_store_b128 off, v[102:105], off
	scratch_store_b128 off, v[160:163], off offset:16
	scratch_store_b128 off, v[188:191], off offset:32
	;; [unrolled: 1-line block ×5, first 2 shown]
	v_cmp_ne_u32_e32 vcc_lo, 1, v0
	v_dual_mov_b32 v148, v104 :: v_dual_mov_b32 v149, v105
	s_clause 0x17
	scratch_store_b128 off, v[96:99], off offset:128
	scratch_store_b128 off, v[58:61], off offset:144
	;; [unrolled: 1-line block ×24, first 2 shown]
	s_wait_loadcnt 0x1
	v_dual_mov_b32 v132, v222 :: v_dual_mov_b32 v133, v223
	s_clause 0xb
	scratch_store_b128 off, v[152:155], off offset:528
	scratch_store_b128 off, v[136:139], off offset:944
	;; [unrolled: 1-line block ×12, first 2 shown]
	s_cbranch_vccz .LBB1_5
; %bb.6:                                ;   in Loop: Header=BB1_4 Depth=2
	s_and_b32 vcc_lo, exec_lo, s15
	s_mov_b32 s12, 0
	s_wait_alu 0xfffe
	s_cbranch_vccnz .LBB1_2
; %bb.7:                                ;   in Loop: Header=BB1_4 Depth=2
	s_mov_b64 s[10:11], s[6:7]
	s_branch .LBB1_4
.LBB1_8:
	v_mov_b32_e32 v0, 0
	v_mov_b32_e32 v1, 0
	s_mov_b32 s2, 0
.LBB1_9:                                ; =>This Inner Loop Header: Depth=1
	s_clause 0x2
	scratch_load_b128 v[2:5], off, s2
	scratch_load_b128 v[6:9], off, s2 offset:96
	scratch_load_b128 v[10:13], off, s2 offset:192
	s_wait_loadcnt 0x3
	s_clause 0xa
	scratch_load_b128 v[14:17], off, s2 offset:16
	scratch_load_b128 v[18:21], off, s2 offset:112
	;; [unrolled: 1-line block ×11, first 2 shown]
	s_wait_loadcnt 0xd
	v_add_f64_e32 v[2:3], 0, v[2:3]
	s_wait_loadcnt 0xc
	v_add_f64_e32 v[6:7], 0, v[6:7]
	;; [unrolled: 2-line block ×3, first 2 shown]
	s_delay_alu instid0(VALU_DEP_3)
	v_add_f64_e32 v[62:63], v[2:3], v[4:5]
	s_clause 0x1
	scratch_load_b128 v[2:5], off, s2 offset:256
	scratch_load_b128 v[58:61], off, s2 offset:80
	v_add_f64_e32 v[64:65], v[6:7], v[8:9]
	scratch_load_b128 v[6:9], off, s2 offset:176
	s_wait_loadcnt 0xd
	v_add_f64_e32 v[14:15], v[62:63], v[14:15]
	v_add_f64_e32 v[62:63], v[10:11], v[12:13]
	s_wait_loadcnt 0xc
	v_add_f64_e32 v[18:19], v[64:65], v[18:19]
	scratch_load_b128 v[10:13], off, s2 offset:272
	s_wait_alu 0xfffe
	s_addk_co_i32 s2, 0x120
	s_wait_alu 0xfffe
	s_cmp_lg_u32 s2, 0x480
	v_add_f64_e32 v[14:15], v[14:15], v[16:17]
	s_wait_loadcnt 0xc
	v_add_f64_e32 v[16:17], v[62:63], v[22:23]
	v_add_f64_e32 v[18:19], v[18:19], v[20:21]
	s_wait_loadcnt 0xb
	s_delay_alu instid0(VALU_DEP_3) | instskip(NEXT) | instid1(VALU_DEP_3)
	v_add_f64_e32 v[14:15], v[14:15], v[26:27]
	v_add_f64_e32 v[16:17], v[16:17], v[24:25]
	s_wait_loadcnt 0xa
	s_delay_alu instid0(VALU_DEP_3) | instskip(NEXT) | instid1(VALU_DEP_3)
	;; [unrolled: 4-line block ×12, first 2 shown]
	v_add_f64_e32 v[2:3], v[2:3], v[10:11]
	v_add_f64_e32 v[4:5], v[4:5], v[8:9]
	s_delay_alu instid0(VALU_DEP_3) | instskip(NEXT) | instid1(VALU_DEP_3)
	v_add_f64_e32 v[0:1], v[0:1], v[6:7]
	v_add_f64_e32 v[2:3], v[2:3], v[12:13]
	s_delay_alu instid0(VALU_DEP_2) | instskip(NEXT) | instid1(VALU_DEP_1)
	v_add_f64_e32 v[0:1], v[0:1], v[4:5]
	v_add_f64_e32 v[0:1], v[0:1], v[2:3]
	s_cbranch_scc1 .LBB1_9
; %bb.10:
	scratch_load_b64 v[2:3], off, off offset:2128 th:TH_LOAD_LU ; 8-byte Folded Reload
	s_wait_loadcnt 0x0
	s_wait_kmcnt 0x0
	v_add_co_u32 v2, vcc_lo, s0, v2
	s_wait_alu 0xfffd
	v_add_co_ci_u32_e64 v3, null, s1, v3, vcc_lo
	global_store_b64 v[2:3], v[0:1], off
.LBB1_11:
	s_nop 0
	s_sendmsg sendmsg(MSG_DEALLOC_VGPRS)
	s_endpgm
	.section	.rodata,"a",@progbits
	.p2align	6, 0x0
	.amdhsa_kernel _ZN8rajaperf17lambda_hip_forallILm256EZNS_4apps6EDGE3D17runHipVariantImplILm256EEEvNS_9VariantIDEEUllE_EEvllT0_
		.amdhsa_group_segment_fixed_size 0
		.amdhsa_private_segment_fixed_size 2144
		.amdhsa_kernarg_size 216
		.amdhsa_user_sgpr_count 2
		.amdhsa_user_sgpr_dispatch_ptr 0
		.amdhsa_user_sgpr_queue_ptr 0
		.amdhsa_user_sgpr_kernarg_segment_ptr 1
		.amdhsa_user_sgpr_dispatch_id 0
		.amdhsa_user_sgpr_private_segment_size 0
		.amdhsa_wavefront_size32 1
		.amdhsa_uses_dynamic_stack 0
		.amdhsa_enable_private_segment 1
		.amdhsa_system_sgpr_workgroup_id_x 1
		.amdhsa_system_sgpr_workgroup_id_y 0
		.amdhsa_system_sgpr_workgroup_id_z 0
		.amdhsa_system_sgpr_workgroup_info 0
		.amdhsa_system_vgpr_workitem_id 0
		.amdhsa_next_free_vgpr 256
		.amdhsa_next_free_sgpr 60
		.amdhsa_reserve_vcc 1
		.amdhsa_float_round_mode_32 0
		.amdhsa_float_round_mode_16_64 0
		.amdhsa_float_denorm_mode_32 3
		.amdhsa_float_denorm_mode_16_64 3
		.amdhsa_fp16_overflow 0
		.amdhsa_workgroup_processor_mode 1
		.amdhsa_memory_ordered 1
		.amdhsa_forward_progress 1
		.amdhsa_inst_pref_size 126
		.amdhsa_round_robin_scheduling 0
		.amdhsa_exception_fp_ieee_invalid_op 0
		.amdhsa_exception_fp_denorm_src 0
		.amdhsa_exception_fp_ieee_div_zero 0
		.amdhsa_exception_fp_ieee_overflow 0
		.amdhsa_exception_fp_ieee_underflow 0
		.amdhsa_exception_fp_ieee_inexact 0
		.amdhsa_exception_int_div_zero 0
	.end_amdhsa_kernel
	.section	.text._ZN8rajaperf17lambda_hip_forallILm256EZNS_4apps6EDGE3D17runHipVariantImplILm256EEEvNS_9VariantIDEEUllE_EEvllT0_,"axG",@progbits,_ZN8rajaperf17lambda_hip_forallILm256EZNS_4apps6EDGE3D17runHipVariantImplILm256EEEvNS_9VariantIDEEUllE_EEvllT0_,comdat
.Lfunc_end1:
	.size	_ZN8rajaperf17lambda_hip_forallILm256EZNS_4apps6EDGE3D17runHipVariantImplILm256EEEvNS_9VariantIDEEUllE_EEvllT0_, .Lfunc_end1-_ZN8rajaperf17lambda_hip_forallILm256EZNS_4apps6EDGE3D17runHipVariantImplILm256EEEvNS_9VariantIDEEUllE_EEvllT0_
                                        ; -- End function
	.set _ZN8rajaperf17lambda_hip_forallILm256EZNS_4apps6EDGE3D17runHipVariantImplILm256EEEvNS_9VariantIDEEUllE_EEvllT0_.num_vgpr, 256
	.set _ZN8rajaperf17lambda_hip_forallILm256EZNS_4apps6EDGE3D17runHipVariantImplILm256EEEvNS_9VariantIDEEUllE_EEvllT0_.num_agpr, 0
	.set _ZN8rajaperf17lambda_hip_forallILm256EZNS_4apps6EDGE3D17runHipVariantImplILm256EEEvNS_9VariantIDEEUllE_EEvllT0_.numbered_sgpr, 60
	.set _ZN8rajaperf17lambda_hip_forallILm256EZNS_4apps6EDGE3D17runHipVariantImplILm256EEEvNS_9VariantIDEEUllE_EEvllT0_.num_named_barrier, 0
	.set _ZN8rajaperf17lambda_hip_forallILm256EZNS_4apps6EDGE3D17runHipVariantImplILm256EEEvNS_9VariantIDEEUllE_EEvllT0_.private_seg_size, 2144
	.set _ZN8rajaperf17lambda_hip_forallILm256EZNS_4apps6EDGE3D17runHipVariantImplILm256EEEvNS_9VariantIDEEUllE_EEvllT0_.uses_vcc, 1
	.set _ZN8rajaperf17lambda_hip_forallILm256EZNS_4apps6EDGE3D17runHipVariantImplILm256EEEvNS_9VariantIDEEUllE_EEvllT0_.uses_flat_scratch, 1
	.set _ZN8rajaperf17lambda_hip_forallILm256EZNS_4apps6EDGE3D17runHipVariantImplILm256EEEvNS_9VariantIDEEUllE_EEvllT0_.has_dyn_sized_stack, 0
	.set _ZN8rajaperf17lambda_hip_forallILm256EZNS_4apps6EDGE3D17runHipVariantImplILm256EEEvNS_9VariantIDEEUllE_EEvllT0_.has_recursion, 0
	.set _ZN8rajaperf17lambda_hip_forallILm256EZNS_4apps6EDGE3D17runHipVariantImplILm256EEEvNS_9VariantIDEEUllE_EEvllT0_.has_indirect_call, 0
	.section	.AMDGPU.csdata,"",@progbits
; Kernel info:
; codeLenInByte = 16120
; TotalNumSgprs: 62
; NumVgprs: 256
; ScratchSize: 2144
; MemoryBound: 0
; FloatMode: 240
; IeeeMode: 1
; LDSByteSize: 0 bytes/workgroup (compile time only)
; SGPRBlocks: 0
; VGPRBlocks: 31
; NumSGPRsForWavesPerEU: 62
; NumVGPRsForWavesPerEU: 256
; Occupancy: 5
; WaveLimiterHint : 1
; COMPUTE_PGM_RSRC2:SCRATCH_EN: 1
; COMPUTE_PGM_RSRC2:USER_SGPR: 2
; COMPUTE_PGM_RSRC2:TRAP_HANDLER: 0
; COMPUTE_PGM_RSRC2:TGID_X_EN: 1
; COMPUTE_PGM_RSRC2:TGID_Y_EN: 0
; COMPUTE_PGM_RSRC2:TGID_Z_EN: 0
; COMPUTE_PGM_RSRC2:TIDIG_COMP_CNT: 0
	.section	.text._ZN4RAJA6policy3hip4impl18forallp_hip_kernelINS1_8hip_execINS_17iteration_mapping6DirectENS_3hip11IndexGlobalILNS_9named_dimE0ELi256ELi0EEENS7_40AvoidDeviceMaxThreadOccupancyConcretizerINS7_34FractionOffsetOccupancyConcretizerINS_8FractionImLm1ELm1EEELln1EEEEELb1EEENS_9Iterators16numeric_iteratorIllPlEEZN8rajaperf4apps6EDGE3D17runHipVariantImplILm256EEEvNSM_9VariantIDEEUllE0_lNS_4expt15ForallParamPackIJEEES6_SA_TnNSt9enable_ifIXaasr3std10is_base_ofINS5_10DirectBaseET4_EE5valuegtsrT5_10block_sizeLi0EEmE4typeELm256EEEvT1_T0_T2_T3_,"axG",@progbits,_ZN4RAJA6policy3hip4impl18forallp_hip_kernelINS1_8hip_execINS_17iteration_mapping6DirectENS_3hip11IndexGlobalILNS_9named_dimE0ELi256ELi0EEENS7_40AvoidDeviceMaxThreadOccupancyConcretizerINS7_34FractionOffsetOccupancyConcretizerINS_8FractionImLm1ELm1EEELln1EEEEELb1EEENS_9Iterators16numeric_iteratorIllPlEEZN8rajaperf4apps6EDGE3D17runHipVariantImplILm256EEEvNSM_9VariantIDEEUllE0_lNS_4expt15ForallParamPackIJEEES6_SA_TnNSt9enable_ifIXaasr3std10is_base_ofINS5_10DirectBaseET4_EE5valuegtsrT5_10block_sizeLi0EEmE4typeELm256EEEvT1_T0_T2_T3_,comdat
	.protected	_ZN4RAJA6policy3hip4impl18forallp_hip_kernelINS1_8hip_execINS_17iteration_mapping6DirectENS_3hip11IndexGlobalILNS_9named_dimE0ELi256ELi0EEENS7_40AvoidDeviceMaxThreadOccupancyConcretizerINS7_34FractionOffsetOccupancyConcretizerINS_8FractionImLm1ELm1EEELln1EEEEELb1EEENS_9Iterators16numeric_iteratorIllPlEEZN8rajaperf4apps6EDGE3D17runHipVariantImplILm256EEEvNSM_9VariantIDEEUllE0_lNS_4expt15ForallParamPackIJEEES6_SA_TnNSt9enable_ifIXaasr3std10is_base_ofINS5_10DirectBaseET4_EE5valuegtsrT5_10block_sizeLi0EEmE4typeELm256EEEvT1_T0_T2_T3_ ; -- Begin function _ZN4RAJA6policy3hip4impl18forallp_hip_kernelINS1_8hip_execINS_17iteration_mapping6DirectENS_3hip11IndexGlobalILNS_9named_dimE0ELi256ELi0EEENS7_40AvoidDeviceMaxThreadOccupancyConcretizerINS7_34FractionOffsetOccupancyConcretizerINS_8FractionImLm1ELm1EEELln1EEEEELb1EEENS_9Iterators16numeric_iteratorIllPlEEZN8rajaperf4apps6EDGE3D17runHipVariantImplILm256EEEvNSM_9VariantIDEEUllE0_lNS_4expt15ForallParamPackIJEEES6_SA_TnNSt9enable_ifIXaasr3std10is_base_ofINS5_10DirectBaseET4_EE5valuegtsrT5_10block_sizeLi0EEmE4typeELm256EEEvT1_T0_T2_T3_
	.globl	_ZN4RAJA6policy3hip4impl18forallp_hip_kernelINS1_8hip_execINS_17iteration_mapping6DirectENS_3hip11IndexGlobalILNS_9named_dimE0ELi256ELi0EEENS7_40AvoidDeviceMaxThreadOccupancyConcretizerINS7_34FractionOffsetOccupancyConcretizerINS_8FractionImLm1ELm1EEELln1EEEEELb1EEENS_9Iterators16numeric_iteratorIllPlEEZN8rajaperf4apps6EDGE3D17runHipVariantImplILm256EEEvNSM_9VariantIDEEUllE0_lNS_4expt15ForallParamPackIJEEES6_SA_TnNSt9enable_ifIXaasr3std10is_base_ofINS5_10DirectBaseET4_EE5valuegtsrT5_10block_sizeLi0EEmE4typeELm256EEEvT1_T0_T2_T3_
	.p2align	8
	.type	_ZN4RAJA6policy3hip4impl18forallp_hip_kernelINS1_8hip_execINS_17iteration_mapping6DirectENS_3hip11IndexGlobalILNS_9named_dimE0ELi256ELi0EEENS7_40AvoidDeviceMaxThreadOccupancyConcretizerINS7_34FractionOffsetOccupancyConcretizerINS_8FractionImLm1ELm1EEELln1EEEEELb1EEENS_9Iterators16numeric_iteratorIllPlEEZN8rajaperf4apps6EDGE3D17runHipVariantImplILm256EEEvNSM_9VariantIDEEUllE0_lNS_4expt15ForallParamPackIJEEES6_SA_TnNSt9enable_ifIXaasr3std10is_base_ofINS5_10DirectBaseET4_EE5valuegtsrT5_10block_sizeLi0EEmE4typeELm256EEEvT1_T0_T2_T3_,@function
_ZN4RAJA6policy3hip4impl18forallp_hip_kernelINS1_8hip_execINS_17iteration_mapping6DirectENS_3hip11IndexGlobalILNS_9named_dimE0ELi256ELi0EEENS7_40AvoidDeviceMaxThreadOccupancyConcretizerINS7_34FractionOffsetOccupancyConcretizerINS_8FractionImLm1ELm1EEELln1EEEEELb1EEENS_9Iterators16numeric_iteratorIllPlEEZN8rajaperf4apps6EDGE3D17runHipVariantImplILm256EEEvNSM_9VariantIDEEUllE0_lNS_4expt15ForallParamPackIJEEES6_SA_TnNSt9enable_ifIXaasr3std10is_base_ofINS5_10DirectBaseET4_EE5valuegtsrT5_10block_sizeLi0EEmE4typeELm256EEEvT1_T0_T2_T3_: ; @_ZN4RAJA6policy3hip4impl18forallp_hip_kernelINS1_8hip_execINS_17iteration_mapping6DirectENS_3hip11IndexGlobalILNS_9named_dimE0ELi256ELi0EEENS7_40AvoidDeviceMaxThreadOccupancyConcretizerINS7_34FractionOffsetOccupancyConcretizerINS_8FractionImLm1ELm1EEELln1EEEEELb1EEENS_9Iterators16numeric_iteratorIllPlEEZN8rajaperf4apps6EDGE3D17runHipVariantImplILm256EEEvNSM_9VariantIDEEUllE0_lNS_4expt15ForallParamPackIJEEES6_SA_TnNSt9enable_ifIXaasr3std10is_base_ofINS5_10DirectBaseET4_EE5valuegtsrT5_10block_sizeLi0EEmE4typeELm256EEEvT1_T0_T2_T3_
; %bb.0:
	s_load_b64 s[2:3], s[0:1], 0xd0
	s_mov_b32 s24, ttmp9
	s_mov_b32 s25, 0
	s_delay_alu instid0(SALU_CYCLE_1) | instskip(NEXT) | instid1(SALU_CYCLE_1)
	s_lshl_b64 s[4:5], s[24:25], 8
	v_or_b32_e32 v0, s4, v0
	v_mov_b32_e32 v1, s5
	s_wait_kmcnt 0x0
	s_delay_alu instid0(VALU_DEP_1)
	v_cmp_gt_i64_e32 vcc_lo, s[2:3], v[0:1]
	s_and_saveexec_b32 s2, vcc_lo
	s_cbranch_execz .LBB2_11
; %bb.1:
	s_clause 0x3
	s_load_b128 s[20:23], s[0:1], 0xc0
	s_load_b512 s[52:67], s[0:1], 0x0
	s_load_b512 s[4:19], s[0:1], 0x80
	;; [unrolled: 1-line block ×3, first 2 shown]
	v_mov_b32_e32 v134, 0
	v_dual_mov_b32 v135, 0 :: v_dual_mov_b32 v60, 0
	v_dual_mov_b32 v61, 0 :: v_dual_mov_b32 v94, 0
	s_mov_b32 s24, s25
	s_mov_b32 s26, s25
	;; [unrolled: 1-line block ×3, first 2 shown]
	v_mov_b32_e32 v138, 0
	v_dual_mov_b32 v186, 0 :: v_dual_mov_b32 v139, 0
	v_dual_mov_b32 v66, 0 :: v_dual_mov_b32 v187, 0
	v_dual_mov_b32 v62, 0 :: v_dual_mov_b32 v67, 0
	v_dual_mov_b32 v63, 0 :: v_dual_mov_b32 v230, 0
	v_mov_b32_e32 v57, s25
	s_wait_kmcnt 0x0
	v_add_co_u32 v0, vcc_lo, v0, s22
	s_delay_alu instid0(VALU_DEP_1) | instskip(SKIP_2) | instid1(VALU_DEP_3)
	v_add_co_ci_u32_e64 v1, null, s23, v1, vcc_lo
	v_dual_mov_b32 v231, 0 :: v_dual_mov_b32 v56, s24
	v_mov_b32_e32 v182, 0
	v_lshlrev_b64_e32 v[47:48], 3, v[0:1]
	v_mov_b32_e32 v208, 0
	v_mov_b32_e32 v154, 0
	;; [unrolled: 1-line block ×5, first 2 shown]
	v_add_co_u32 v0, vcc_lo, s52, v47
	s_wait_alu 0xfffd
	v_add_co_ci_u32_e64 v1, null, s53, v48, vcc_lo
	v_add_co_u32 v2, vcc_lo, s54, v47
	s_wait_alu 0xfffd
	v_add_co_ci_u32_e64 v3, null, s55, v48, vcc_lo
	;; [unrolled: 3-line block ×6, first 2 shown]
	global_load_b64 v[14:15], v[0:1], off
	global_load_b64 v[16:17], v[2:3], off
	;; [unrolled: 1-line block ×4, first 2 shown]
	v_add_co_u32 v0, vcc_lo, s64, v47
	s_wait_alu 0xfffd
	v_add_co_ci_u32_e64 v1, null, s65, v48, vcc_lo
	v_add_co_u32 v2, vcc_lo, s66, v47
	s_wait_alu 0xfffd
	v_add_co_ci_u32_e64 v3, null, s67, v48, vcc_lo
	v_add_co_u32 v12, vcc_lo, s36, v47
	s_wait_alu 0xfffd
	v_add_co_ci_u32_e64 v13, null, s37, v48, vcc_lo
	global_load_b64 v[8:9], v[8:9], off
	global_load_b64 v[18:19], v[10:11], off
	global_load_b64 v[20:21], v[0:1], off
	global_load_b64 v[22:23], v[2:3], off
	global_load_b64 v[24:25], v[12:13], off
	v_add_co_u32 v0, vcc_lo, s38, v47
	s_wait_alu 0xfffd
	v_add_co_ci_u32_e64 v1, null, s39, v48, vcc_lo
	v_add_co_u32 v2, vcc_lo, s40, v47
	s_wait_alu 0xfffd
	v_add_co_ci_u32_e64 v3, null, s41, v48, vcc_lo
	v_add_co_u32 v10, vcc_lo, s42, v47
	s_wait_alu 0xfffd
	v_add_co_ci_u32_e64 v11, null, s43, v48, vcc_lo
	v_add_co_u32 v12, vcc_lo, s44, v47
	s_wait_alu 0xfffd
	v_add_co_ci_u32_e64 v13, null, s45, v48, vcc_lo
	v_add_co_u32 v26, vcc_lo, s46, v47
	s_wait_alu 0xfffd
	v_add_co_ci_u32_e64 v27, null, s47, v48, vcc_lo
	global_load_b64 v[28:29], v[0:1], off
	global_load_b64 v[30:31], v[2:3], off
	global_load_b64 v[32:33], v[10:11], off
	global_load_b64 v[34:35], v[12:13], off
	global_load_b64 v[26:27], v[26:27], off
	v_add_co_u32 v0, vcc_lo, s48, v47
	s_wait_alu 0xfffd
	v_add_co_ci_u32_e64 v1, null, s49, v48, vcc_lo
	v_add_co_u32 v2, vcc_lo, s50, v47
	s_wait_alu 0xfffd
	v_add_co_ci_u32_e64 v3, null, s51, v48, vcc_lo
	;; [unrolled: 20-line block ×3, first 2 shown]
	v_add_co_u32 v10, vcc_lo, s14, v47
	s_wait_alu 0xfffd
	v_add_co_ci_u32_e64 v11, null, s15, v48, vcc_lo
	v_add_co_u32 v12, vcc_lo, s16, v47
	s_wait_alu 0xfffd
	v_add_co_ci_u32_e64 v13, null, s17, v48, vcc_lo
	v_add_co_u32 v46, vcc_lo, s18, v47
	scratch_store_b64 off, v[47:48], off offset:2128 ; 8-byte Folded Spill
	s_wait_alu 0xfffd
	v_add_co_ci_u32_e64 v47, null, s19, v48, vcc_lo
	global_load_b64 v[48:49], v[0:1], off
	global_load_b64 v[50:51], v[2:3], off
	;; [unrolled: 1-line block ×5, first 2 shown]
	v_mov_b32_e32 v12, 0
	v_dual_mov_b32 v13, 0 :: v_dual_mov_b32 v10, v134
	v_dual_mov_b32 v11, v135 :: v_dual_mov_b32 v58, v134
	;; [unrolled: 1-line block ×3, first 2 shown]
	v_mov_b32_e32 v1, s25
	scratch_store_b128 off, v[10:13], off offset:1152 ; 16-byte Folded Spill
	v_dual_mov_b32 v2, s26 :: v_dual_mov_b32 v3, s27
	v_dual_mov_b32 v64, v134 :: v_dual_mov_b32 v65, v135
	scratch_store_b128 off, v[58:61], off offset:1168 ; 16-byte Folded Spill
	v_dual_mov_b32 v60, v134 :: v_dual_mov_b32 v61, v135
	v_mov_b32_e32 v226, 0
	scratch_store_b128 off, v[64:67], off offset:1200 ; 16-byte Folded Spill
	v_mov_b32_e32 v82, 0
	v_mov_b32_e32 v116, 0
	s_clause 0x1f
	scratch_store_b128 off, v[60:63], off offset:1184
	scratch_store_b128 off, v[0:3], off
	scratch_store_b128 off, v[0:3], off offset:16
	scratch_store_b128 off, v[0:3], off offset:32
	;; [unrolled: 1-line block ×30, first 2 shown]
	s_clause 0x6
	scratch_store_b64 off, v[56:57], off offset:184
	scratch_store_b128 off, v[0:3], off offset:360
	scratch_store_b64 off, v[56:57], off offset:376
	scratch_store_b128 off, v[0:3], off offset:552
	;; [unrolled: 2-line block ×3, first 2 shown]
	scratch_store_b64 off, v[56:57], off offset:760
	v_mov_b32_e32 v60, 0
	v_mov_b32_e32 v122, 0
	;; [unrolled: 1-line block ×4, first 2 shown]
	v_dual_mov_b32 v112, 0 :: v_dual_mov_b32 v183, 0
	v_dual_mov_b32 v194, 0 :: v_dual_mov_b32 v209, 0
	;; [unrolled: 1-line block ×7, first 2 shown]
	v_mov_b32_e32 v234, 0
	v_dual_mov_b32 v252, 0 :: v_dual_mov_b32 v251, v135
	v_dual_mov_b32 v238, 0 :: v_dual_mov_b32 v237, v135
	;; [unrolled: 1-line block ×11, first 2 shown]
	v_mov_b32_e32 v91, 0
	v_dual_mov_b32 v113, 0 :: v_dual_mov_b32 v86, 0
	v_mov_b32_e32 v150, 0
	s_mov_b32 s0, 0x74df99c7
	v_mov_b32_e32 v95, 0
	v_mov_b32_e32 v195, 0
	;; [unrolled: 1-line block ×8, first 2 shown]
	v_dual_mov_b32 v137, v135 :: v_dual_mov_b32 v136, v134
	v_dual_mov_b32 v92, v134 :: v_dual_mov_b32 v93, v135
	v_dual_mov_b32 v181, v135 :: v_dual_mov_b32 v180, v134
	v_dual_mov_b32 v193, v135 :: v_dual_mov_b32 v192, v134
	v_dual_mov_b32 v185, v135 :: v_dual_mov_b32 v184, v134
	v_dual_mov_b32 v207, v135 :: v_dual_mov_b32 v206, v134
	v_dual_mov_b32 v197, v135 :: v_dual_mov_b32 v196, v134
	v_dual_mov_b32 v153, v135 :: v_dual_mov_b32 v152, v134
	v_dual_mov_b32 v217, v135 :: v_dual_mov_b32 v216, v134
	v_dual_mov_b32 v165, v135 :: v_dual_mov_b32 v164, v134
	v_dual_mov_b32 v157, v135 :: v_dual_mov_b32 v156, v134
	v_dual_mov_b32 v126, v134 :: v_dual_mov_b32 v127, v135
	v_dual_mov_b32 v169, v135 :: v_dual_mov_b32 v168, v134
	v_dual_mov_b32 v173, v135 :: v_dual_mov_b32 v172, v134
	v_dual_mov_b32 v177, v135 :: v_dual_mov_b32 v176, v134
	v_dual_mov_b32 v225, v135 :: v_dual_mov_b32 v224, v134
	v_dual_mov_b32 v233, v135 :: v_dual_mov_b32 v232, v134
	v_dual_mov_b32 v229, v135 :: v_dual_mov_b32 v228, v134
	v_dual_mov_b32 v253, 0 :: v_dual_mov_b32 v250, v134
	v_dual_mov_b32 v239, 0 :: v_dual_mov_b32 v236, v134
	v_dual_mov_b32 v203, 0 :: v_dual_mov_b32 v200, v134
	v_dual_mov_b32 v99, 0 :: v_dual_mov_b32 v96, v134
	v_mov_b32_e32 v97, v135
	v_mov_b32_e32 v81, v135
	;; [unrolled: 1-line block ×4, first 2 shown]
	v_dual_mov_b32 v215, 0 :: v_dual_mov_b32 v212, v134
	v_dual_mov_b32 v191, 0 :: v_dual_mov_b32 v188, v134
	;; [unrolled: 1-line block ×3, first 2 shown]
	v_mov_b32_e32 v103, v135
	v_mov_b32_e32 v87, 0
	;; [unrolled: 1-line block ×3, first 2 shown]
	s_mov_b32 s1, 0x3fcb0cb1
	s_mov_b32 s2, 0x4ad4b81f
	;; [unrolled: 1-line block ×3, first 2 shown]
	s_mov_b32 s8, -1
	s_mov_b32 s3, 0x358dee7a
	s_mov_b32 s5, 0x3fe93cd3
	s_mov_b64 s[6:7], s[0:1]
	s_wait_loadcnt 0x15
	v_add_f64_e64 v[106:107], v[4:5], -v[16:17]
	s_wait_loadcnt 0x14
	v_add_f64_e64 v[12:13], v[6:7], -v[14:15]
	v_add_f64_e64 v[74:75], v[4:5], -v[6:7]
	s_wait_loadcnt 0x13
	v_add_f64_e64 v[10:11], v[8:9], -v[14:15]
	s_wait_loadcnt 0x12
	v_add_f64_e64 v[62:63], v[18:19], -v[8:9]
	s_wait_loadcnt 0x11
	v_add_f64_e64 v[68:69], v[20:21], -v[18:19]
	s_wait_loadcnt 0x10
	v_add_f64_e64 v[64:65], v[22:23], -v[8:9]
	v_add_f64_e64 v[66:67], v[20:21], -v[22:23]
	scratch_store_b64 off, v[10:11], off offset:2032 ; 8-byte Folded Spill
	v_add_f64_e64 v[10:11], v[18:19], -v[16:17]
	s_wait_loadcnt 0xc
	v_add_f64_e64 v[18:19], v[30:31], -v[32:33]
	s_wait_loadcnt 0x9
	;; [unrolled: 2-line block ×3, first 2 shown]
	v_add_f64_e64 v[70:71], v[40:41], -v[34:35]
	scratch_store_b64 off, v[10:11], off offset:2040 ; 8-byte Folded Spill
	v_add_f64_e64 v[10:11], v[20:21], -v[4:5]
	v_add_f64_e64 v[20:21], v[32:33], -v[24:25]
	scratch_store_b64 off, v[10:11], off offset:2048 ; 8-byte Folded Spill
	v_add_f64_e64 v[10:11], v[22:23], -v[6:7]
	v_add_f64_e64 v[22:23], v[30:31], -v[28:29]
	v_mov_b32_e32 v6, 0
	v_mov_b32_e32 v7, 0
	scratch_store_b64 off, v[10:11], off offset:2056 ; 8-byte Folded Spill
	v_add_f64_e64 v[10:11], v[34:35], -v[24:25]
	scratch_store_b64 off, v[10:11], off offset:2064 ; 8-byte Folded Spill
	v_add_f64_e64 v[10:11], v[26:27], -v[28:29]
	;; [unrolled: 2-line block ×3, first 2 shown]
	s_wait_loadcnt 0x4
	v_add_f64_e64 v[30:31], v[36:37], -v[48:49]
	scratch_store_b64 off, v[10:11], off offset:2080 ; 8-byte Folded Spill
	v_add_f64_e64 v[10:11], v[40:41], -v[32:33]
	v_add_f64_e64 v[40:41], v[38:39], -v[40:41]
	v_dual_mov_b32 v32, v134 :: v_dual_mov_b32 v33, v135
	scratch_store_b64 off, v[10:11], off offset:2088 ; 8-byte Folded Spill
	s_wait_loadcnt 0x3
	v_add_f64_e64 v[10:11], v[50:51], -v[42:43]
	scratch_store_b64 off, v[10:11], off offset:2096 ; 8-byte Folded Spill
	s_wait_loadcnt 0x2
	v_add_f64_e64 v[10:11], v[52:53], -v[44:45]
	;; [unrolled: 3-line block ×3, first 2 shown]
	v_add_f64_e64 v[36:37], v[36:37], -v[44:45]
	scratch_store_b64 off, v[10:11], off offset:2112 ; 8-byte Folded Spill
	s_wait_loadcnt 0x0
	v_add_f64_e64 v[10:11], v[46:47], -v[48:49]
	scratch_store_b64 off, v[10:11], off offset:2120 ; 8-byte Folded Spill
	v_add_f64_e64 v[10:11], v[16:17], -v[14:15]
	v_add_f64_e64 v[14:15], v[28:29], -v[24:25]
	;; [unrolled: 1-line block ×9, first 2 shown]
	v_mov_b32_e32 v34, 0
	v_dual_mov_b32 v54, 0 :: v_dual_mov_b32 v35, 0
	v_dual_mov_b32 v55, 0 :: v_dual_mov_b32 v52, v134
	v_mov_b32_e32 v53, v135
	s_clause 0x1b
	scratch_store_b128 off, v[0:3], off offset:936
	scratch_store_b64 off, v[56:57], off offset:952
	scratch_store_b128 off, v[0:3], off offset:1040
	scratch_store_b64 off, v[56:57], off offset:1144
	scratch_store_b64 off, v[10:11], off offset:1848
	;; [unrolled: 1-line block ×25, first 2 shown]
	s_branch .LBB2_3
.LBB2_2:                                ;   in Loop: Header=BB2_3 Depth=1
	s_mov_b32 s8, 0
	s_and_not1_b32 vcc_lo, exec_lo, s12
	s_mov_b64 s[6:7], s[4:5]
	s_wait_alu 0xfffe
	s_cbranch_vccz .LBB2_8
.LBB2_3:                                ; =>This Loop Header: Depth=1
                                        ;     Child Loop BB2_4 Depth 2
                                        ;       Child Loop BB2_5 Depth 3
	s_wait_alu 0xfffe
	v_add_f64_e64 v[118:119], -s[6:7], 1.0
	s_xor_b32 s12, s8, -1
	s_mov_b32 s10, -1
	s_mov_b64 s[8:9], s[0:1]
.LBB2_4:                                ;   Parent Loop BB2_3 Depth=1
                                        ; =>  This Loop Header: Depth=2
                                        ;       Child Loop BB2_5 Depth 3
	s_wait_alu 0xfffe
	v_add_f64_e64 v[0:1], -s[8:9], 1.0
	v_mul_f64_e64 v[50:51], s[6:7], s[8:9]
	s_mov_b32 s14, -1
	s_xor_b32 s13, s10, -1
	s_mov_b64 s[10:11], s[0:1]
	s_clause 0x1
	scratch_load_b64 v[2:3], off, off offset:2072
	scratch_load_b64 v[4:5], off, off offset:2104
	v_mul_f64_e32 v[8:9], s[6:7], v[0:1]
	scratch_store_b64 off, v[0:1], off offset:1840 ; 8-byte Folded Spill
	v_mul_f64_e32 v[16:17], v[118:119], v[0:1]
	scratch_load_b64 v[0:1], off, off offset:2040 ; 8-byte Folded Reload
	s_clause 0x1
	scratch_store_b64 off, v[8:9], off offset:1784
	scratch_store_b64 off, v[16:17], off offset:1792
	s_wait_loadcnt 0x2
	v_mul_f64_e32 v[2:3], v[2:3], v[8:9]
	s_wait_loadcnt 0x1
	v_mul_f64_e32 v[4:5], v[4:5], v[8:9]
	;; [unrolled: 2-line block ×3, first 2 shown]
	scratch_load_b64 v[8:9], off, off offset:2032 ; 8-byte Folded Reload
	s_wait_loadcnt 0x0
	v_fma_f64 v[0:1], v[8:9], v[16:17], v[0:1]
	scratch_load_b64 v[8:9], off, off offset:2064 ; 8-byte Folded Reload
	s_wait_loadcnt 0x0
	v_fma_f64 v[2:3], v[8:9], v[16:17], v[2:3]
	;; [unrolled: 3-line block ×3, first 2 shown]
	scratch_load_b64 v[8:9], off, off offset:2048 ; 8-byte Folded Reload
	v_mul_f64_e32 v[16:17], s[8:9], v[118:119]
	s_clause 0x1
	scratch_store_b64 off, v[50:51], off offset:1800
	scratch_store_b64 off, v[16:17], off offset:1808
	s_wait_loadcnt 0x0
	v_fma_f64 v[0:1], v[8:9], v[50:51], v[0:1]
	scratch_load_b64 v[8:9], off, off offset:2080 ; 8-byte Folded Reload
	s_wait_loadcnt 0x0
	v_fma_f64 v[2:3], v[8:9], v[50:51], v[2:3]
	scratch_load_b64 v[8:9], off, off offset:2112 ; 8-byte Folded Reload
	s_wait_loadcnt 0x0
	v_fma_f64 v[4:5], v[8:9], v[50:51], v[4:5]
	scratch_load_b64 v[8:9], off, off offset:2056 ; 8-byte Folded Reload
	s_wait_loadcnt 0x0
	v_fma_f64 v[0:1], v[8:9], v[16:17], v[0:1]
	scratch_store_b64 off, v[0:1], off offset:1816 ; 8-byte Folded Spill
	scratch_load_b64 v[0:1], off, off offset:2088 ; 8-byte Folded Reload
	s_wait_loadcnt 0x0
	v_fma_f64 v[0:1], v[0:1], v[16:17], v[2:3]
	scratch_store_b64 off, v[0:1], off offset:1824 ; 8-byte Folded Spill
	scratch_load_b64 v[0:1], off, off offset:2120 ; 8-byte Folded Reload
	s_wait_loadcnt 0x0
	v_fma_f64 v[0:1], v[0:1], v[16:17], v[4:5]
	scratch_store_b64 off, v[0:1], off offset:1832 ; 8-byte Folded Spill
.LBB2_5:                                ;   Parent Loop BB2_3 Depth=1
                                        ;     Parent Loop BB2_4 Depth=2
                                        ; =>    This Inner Loop Header: Depth=3
	scratch_load_b64 v[148:149], off, off offset:1840 ; 8-byte Folded Reload
	s_wait_alu 0xfffe
	v_add_f64_e64 v[16:17], -s[10:11], 1.0
	v_dual_mov_b32 v143, v61 :: v_dual_mov_b32 v142, v60
	v_dual_mov_b32 v141, v59 :: v_dual_mov_b32 v140, v58
	;; [unrolled: 1-line block ×6, first 2 shown]
	s_clause 0x2
	scratch_load_b64 v[210:211], off, off offset:1816
	scratch_load_b64 v[240:241], off, off offset:1824
	scratch_load_b64 v[124:125], off, off offset:1832
	v_mul_f64_e32 v[0:1], s[8:9], v[16:17]
	s_delay_alu instid0(VALU_DEP_1)
	v_mul_f64_e32 v[4:5], v[18:19], v[0:1]
	v_mul_f64_e32 v[8:9], v[30:31], v[0:1]
	;; [unrolled: 1-line block ×4, first 2 shown]
	s_wait_loadcnt 0x3
	v_mul_f64_e32 v[2:3], v[148:149], v[16:17]
	s_delay_alu instid0(VALU_DEP_1)
	v_fma_f64 v[4:5], v[14:15], v[2:3], v[4:5]
	v_fma_f64 v[8:9], v[26:27], v[2:3], v[8:9]
	v_mul_f64_e32 v[26:27], s[6:7], v[16:17]
	v_mul_f64_e32 v[14:15], v[20:21], v[18:19]
	v_mul_f64_e32 v[20:21], v[28:29], v[18:19]
	v_mul_f64_e32 v[28:29], s[10:11], v[148:149]
	s_delay_alu instid0(VALU_DEP_3) | instskip(NEXT) | instid1(VALU_DEP_3)
	v_fma_f64 v[14:15], v[22:23], v[26:27], v[14:15]
	v_fma_f64 v[20:21], v[36:37], v[26:27], v[20:21]
	s_delay_alu instid0(VALU_DEP_3) | instskip(SKIP_4) | instid1(VALU_DEP_4)
	v_fma_f64 v[4:5], v[24:25], v[28:29], v[4:5]
	v_mul_f64_e64 v[36:37], s[8:9], s[10:11]
	v_fma_f64 v[8:9], v[42:43], v[28:29], v[8:9]
	v_fma_f64 v[14:15], v[70:71], v[30:31], v[14:15]
	;; [unrolled: 1-line block ×4, first 2 shown]
	scratch_load_b64 v[4:5], off, off offset:1216 ; 8-byte Folded Reload
	v_fma_f64 v[24:25], v[46:47], v[36:37], v[8:9]
	v_mul_f64_e64 v[8:9], s[6:7], s[10:11]
	s_delay_alu instid0(VALU_DEP_1) | instskip(SKIP_1) | instid1(VALU_DEP_1)
	v_fma_f64 v[14:15], v[72:73], v[8:9], v[14:15]
	s_wait_loadcnt 0x3
	v_mul_f64_e32 v[54:55], v[210:211], v[14:15]
	s_wait_loadcnt 0x0
	v_fma_f64 v[48:49], v[4:5], v[8:9], v[20:21]
	v_mul_f64_e32 v[4:5], v[14:15], v[24:25]
	s_delay_alu instid0(VALU_DEP_2) | instskip(NEXT) | instid1(VALU_DEP_2)
	v_mul_f64_e32 v[20:21], v[50:51], v[48:49]
	v_mul_f64_e32 v[22:23], v[210:211], v[4:5]
	v_fma_f64 v[4:5], v[50:51], v[48:49], -v[4:5]
	s_delay_alu instid0(VALU_DEP_2) | instskip(SKIP_1) | instid1(VALU_DEP_1)
	v_fma_f64 v[20:21], v[210:211], v[20:21], -v[22:23]
	v_mul_f64_e32 v[22:23], v[12:13], v[18:19]
	v_fma_f64 v[22:23], v[106:107], v[26:27], v[22:23]
	s_delay_alu instid0(VALU_DEP_1) | instskip(NEXT) | instid1(VALU_DEP_1)
	v_fma_f64 v[22:23], v[64:65], v[30:31], v[22:23]
	v_fma_f64 v[56:57], v[68:69], v[8:9], v[22:23]
	s_delay_alu instid0(VALU_DEP_1) | instskip(SKIP_2) | instid1(VALU_DEP_3)
	v_mul_f64_e32 v[22:23], v[56:57], v[24:25]
	v_mul_f64_e32 v[38:39], v[56:57], v[50:51]
	v_fma_f64 v[54:55], v[240:241], v[56:57], -v[54:55]
	v_fma_f64 v[20:21], v[240:241], v[22:23], v[20:21]
	v_mul_f64_e32 v[22:23], v[74:75], v[0:1]
	s_delay_alu instid0(VALU_DEP_1) | instskip(NEXT) | instid1(VALU_DEP_1)
	v_fma_f64 v[22:23], v[10:11], v[2:3], v[22:23]
	v_fma_f64 v[22:23], v[62:63], v[28:29], v[22:23]
	s_delay_alu instid0(VALU_DEP_1) | instskip(NEXT) | instid1(VALU_DEP_1)
	v_fma_f64 v[60:61], v[66:67], v[36:37], v[22:23]
	v_mul_f64_e32 v[22:23], v[60:61], v[48:49]
	v_mul_f64_e32 v[40:41], v[60:61], v[14:15]
	;; [unrolled: 1-line block ×3, first 2 shown]
	s_delay_alu instid0(VALU_DEP_3) | instskip(SKIP_1) | instid1(VALU_DEP_3)
	v_fma_f64 v[20:21], -v[240:241], v[22:23], v[20:21]
	v_fma_f64 v[22:23], v[56:57], v[24:25], -v[22:23]
	v_fma_f64 v[52:53], v[210:211], v[50:51], -v[52:53]
	s_delay_alu instid0(VALU_DEP_3) | instskip(SKIP_1) | instid1(VALU_DEP_2)
	v_fma_f64 v[20:21], -v[124:125], v[38:39], v[20:21]
	v_fma_f64 v[38:39], v[60:61], v[14:15], -v[38:39]
	v_fma_f64 v[62:63], v[124:125], v[40:41], v[20:21]
	s_delay_alu instid0(VALU_DEP_1) | instskip(NEXT) | instid1(VALU_DEP_1)
	v_add_f64_e32 v[20:21], s[2:3], v[62:63]
	v_div_scale_f64 v[40:41], null, v[20:21], v[20:21], 1.0
	s_delay_alu instid0(VALU_DEP_1) | instskip(NEXT) | instid1(TRANS32_DEP_1)
	v_rcp_f64_e32 v[42:43], v[40:41]
	v_fma_f64 v[44:45], -v[40:41], v[42:43], 1.0
	s_delay_alu instid0(VALU_DEP_1) | instskip(NEXT) | instid1(VALU_DEP_1)
	v_fma_f64 v[42:43], v[42:43], v[44:45], v[42:43]
	v_fma_f64 v[44:45], -v[40:41], v[42:43], 1.0
	s_delay_alu instid0(VALU_DEP_1) | instskip(SKIP_1) | instid1(VALU_DEP_1)
	v_fma_f64 v[42:43], v[42:43], v[44:45], v[42:43]
	v_div_scale_f64 v[44:45], vcc_lo, 1.0, v[20:21], 1.0
	v_mul_f64_e32 v[46:47], v[44:45], v[42:43]
	s_delay_alu instid0(VALU_DEP_1) | instskip(SKIP_2) | instid1(VALU_DEP_2)
	v_fma_f64 v[40:41], -v[40:41], v[46:47], v[44:45]
	v_mul_f64_e32 v[44:45], v[124:125], v[56:57]
	s_wait_alu 0xfffd
	v_div_fmas_f64 v[40:41], v[40:41], v[42:43], v[46:47]
	v_mul_f64_e32 v[42:43], v[124:125], v[50:51]
	v_mul_f64_e32 v[46:47], v[210:211], v[24:25]
	s_delay_alu instid0(VALU_DEP_4) | instskip(NEXT) | instid1(VALU_DEP_4)
	v_fma_f64 v[44:45], v[210:211], v[48:49], -v[44:45]
	v_div_fixup_f64 v[20:21], v[40:41], v[20:21], 1.0
	v_mul_f64_e32 v[40:41], v[240:241], v[48:49]
	v_fma_f64 v[42:43], v[240:241], v[24:25], -v[42:43]
	v_fma_f64 v[46:47], v[124:125], v[60:61], -v[46:47]
	s_delay_alu instid0(VALU_DEP_4) | instskip(NEXT) | instid1(VALU_DEP_4)
	v_mul_f64_e32 v[76:77], v[4:5], v[20:21]
	v_fma_f64 v[40:41], v[124:125], v[14:15], -v[40:41]
	s_delay_alu instid0(VALU_DEP_4) | instskip(NEXT) | instid1(VALU_DEP_4)
	v_mul_f64_e32 v[42:43], v[42:43], v[20:21]
	v_mul_f64_e32 v[46:47], v[46:47], v[20:21]
	v_mul_f64_e32 v[4:5], v[44:45], v[20:21]
	v_mul_f64_e32 v[44:45], v[52:53], v[20:21]
	v_mul_f64_e32 v[52:53], v[22:23], v[20:21]
	v_mul_f64_e32 v[54:55], v[54:55], v[20:21]
	v_mul_f64_e32 v[38:39], v[38:39], v[20:21]
	v_mul_f64_e32 v[40:41], v[40:41], v[20:21]
	v_mul_f64_e32 v[72:73], 0, v[42:43]
	v_mul_f64_e32 v[58:59], 0, v[46:47]
	v_mul_f64_e32 v[74:75], 0, v[44:45]
	v_mul_f64_e32 v[78:79], 0, v[54:55]
	s_delay_alu instid0(VALU_DEP_4) | instskip(NEXT) | instid1(VALU_DEP_4)
	v_fma_f64 v[64:65], v[0:1], v[40:41], v[72:73]
	v_fma_f64 v[20:21], v[2:3], v[4:5], v[58:59]
	;; [unrolled: 1-line block ×18, first 2 shown]
	v_mul_f64_e32 v[0:1], v[96:97], v[96:97]
	v_mul_f64_e32 v[2:3], v[96:97], v[64:65]
	;; [unrolled: 1-line block ×3, first 2 shown]
	s_delay_alu instid0(VALU_DEP_3) | instskip(NEXT) | instid1(VALU_DEP_3)
	v_fma_f64 v[0:1], v[98:99], v[98:99], v[0:1]
	v_fma_f64 v[2:3], v[98:99], v[20:21], v[2:3]
	s_delay_alu instid0(VALU_DEP_3) | instskip(NEXT) | instid1(VALU_DEP_3)
	v_fma_f64 v[36:37], v[98:99], v[242:243], v[36:37]
	v_fma_f64 v[66:67], v[100:101], v[100:101], v[0:1]
	v_ldexp_f64 v[0:1], |v[62:63]|, -3
	s_delay_alu instid0(VALU_DEP_4) | instskip(NEXT) | instid1(VALU_DEP_4)
	v_fma_f64 v[2:3], v[100:101], v[22:23], v[2:3]
	v_fma_f64 v[36:37], v[100:101], v[244:245], v[36:37]
	s_delay_alu instid0(VALU_DEP_3) | instskip(NEXT) | instid1(VALU_DEP_3)
	v_fma_f64 v[220:221], v[0:1], v[66:67], v[102:103]
	v_fma_f64 v[222:223], v[0:1], v[2:3], v[104:105]
	;; [unrolled: 1-line block ×6, first 2 shown]
	v_mul_f64_e32 v[36:37], 0, v[40:41]
	v_fma_f64 v[102:103], v[52:53], 0, v[2:3]
	v_fma_f64 v[104:105], v[76:77], 0, v[66:67]
	;; [unrolled: 1-line block ×3, first 2 shown]
	s_delay_alu instid0(VALU_DEP_4) | instskip(SKIP_2) | instid1(VALU_DEP_2)
	v_fma_f64 v[70:71], v[26:27], v[42:43], v[36:37]
	v_fma_f64 v[68:69], v[18:19], v[42:43], v[36:37]
	v_mul_f64_e32 v[2:3], v[96:97], v[102:103]
	v_fma_f64 v[108:109], v[76:77], 0, v[68:69]
	s_delay_alu instid0(VALU_DEP_2) | instskip(NEXT) | instid1(VALU_DEP_1)
	v_fma_f64 v[2:3], v[98:99], v[104:105], v[2:3]
	v_fma_f64 v[2:3], v[100:101], v[28:29], v[2:3]
	s_delay_alu instid0(VALU_DEP_1) | instskip(SKIP_2) | instid1(VALU_DEP_2)
	v_fma_f64 v[160:161], v[0:1], v[2:3], v[160:161]
	v_mul_f64_e32 v[2:3], 0, v[4:5]
	v_fma_f64 v[4:5], v[4:5], 0, v[58:59]
	v_fma_f64 v[66:67], v[18:19], v[46:47], v[2:3]
	;; [unrolled: 1-line block ×5, first 2 shown]
	s_delay_alu instid0(VALU_DEP_4)
	v_fma_f64 v[106:107], v[52:53], 0, v[66:67]
	v_fma_f64 v[66:67], v[76:77], 0, v[70:71]
	;; [unrolled: 1-line block ×5, first 2 shown]
	v_mul_f64_e32 v[18:19], v[96:97], v[106:107]
	s_delay_alu instid0(VALU_DEP_4) | instskip(NEXT) | instid1(VALU_DEP_2)
	v_mul_f64_e32 v[26:27], v[96:97], v[70:71]
	v_fma_f64 v[18:19], v[98:99], v[108:109], v[18:19]
	s_delay_alu instid0(VALU_DEP_2) | instskip(NEXT) | instid1(VALU_DEP_2)
	v_fma_f64 v[26:27], v[98:99], v[66:67], v[26:27]
	v_fma_f64 v[18:19], v[100:101], v[110:111], v[18:19]
	s_delay_alu instid0(VALU_DEP_2) | instskip(NEXT) | instid1(VALU_DEP_2)
	v_fma_f64 v[26:27], v[100:101], v[68:69], v[26:27]
	v_fma_f64 v[10:11], v[0:1], v[18:19], v[188:189]
	;; [unrolled: 1-line block ×3, first 2 shown]
	s_delay_alu instid0(VALU_DEP_3)
	v_fma_f64 v[12:13], v[0:1], v[26:27], v[190:191]
	v_fma_f64 v[26:27], v[8:9], v[42:43], v[36:37]
	;; [unrolled: 1-line block ×7, first 2 shown]
	scratch_store_b128 off, v[10:13], off offset:1224 ; 16-byte Folded Spill
	v_fma_f64 v[248:249], v[76:77], 0, v[26:27]
	v_fma_f64 v[204:205], v[52:53], 0, v[36:37]
	v_fma_f64 v[2:3], v[52:53], 0, v[2:3]
	v_fma_f64 v[88:89], v[38:39], 0, v[8:9]
	v_fma_f64 v[188:189], v[38:39], 0, v[30:31]
	scratch_load_b64 v[12:13], off, off offset:1792 ; 8-byte Folded Reload
	v_fma_f64 v[26:27], v[54:55], 0, v[74:75]
	v_mul_f64_e32 v[8:9], v[96:97], v[204:205]
	v_mul_f64_e32 v[18:19], v[96:97], v[2:3]
	s_delay_alu instid0(VALU_DEP_2) | instskip(NEXT) | instid1(VALU_DEP_2)
	v_fma_f64 v[8:9], v[98:99], v[190:191], v[8:9]
	v_fma_f64 v[18:19], v[98:99], v[248:249], v[18:19]
	s_delay_alu instid0(VALU_DEP_2) | instskip(NEXT) | instid1(VALU_DEP_2)
	v_fma_f64 v[8:9], v[100:101], v[188:189], v[8:9]
	v_fma_f64 v[18:19], v[100:101], v[88:89], v[18:19]
	;; [unrolled: 3-line block ×3, first 2 shown]
	scratch_store_b128 off, v[8:11], off offset:1240 ; 16-byte Folded Spill
	scratch_load_b64 v[10:11], off, off offset:1784 ; 8-byte Folded Reload
	v_fma_f64 v[8:9], v[40:41], 0, v[72:73]
	s_wait_loadcnt 0x1
	v_fma_f64 v[212:213], v[12:13], v[52:53], v[4:5]
	s_delay_alu instid0(VALU_DEP_2) | instskip(SKIP_1) | instid1(VALU_DEP_3)
	v_fma_f64 v[78:79], v[12:13], v[76:77], v[8:9]
	v_fma_f64 v[214:215], v[12:13], v[38:39], v[26:27]
	v_mul_f64_e32 v[18:19], v[96:97], v[212:213]
	s_delay_alu instid0(VALU_DEP_1) | instskip(NEXT) | instid1(VALU_DEP_1)
	v_fma_f64 v[30:31], v[98:99], v[78:79], v[18:19]
	v_fma_f64 v[30:31], v[100:101], v[214:215], v[30:31]
	s_wait_loadcnt 0x0
	v_fma_f64 v[36:37], v[10:11], v[52:53], v[4:5]
	v_fma_f64 v[18:19], v[10:11], v[76:77], v[8:9]
	;; [unrolled: 1-line block ×3, first 2 shown]
	s_delay_alu instid0(VALU_DEP_4) | instskip(NEXT) | instid1(VALU_DEP_4)
	v_fma_f64 v[10:11], v[0:1], v[30:31], v[120:121]
	v_mul_f64_e32 v[40:41], v[96:97], v[36:37]
	s_delay_alu instid0(VALU_DEP_1) | instskip(NEXT) | instid1(VALU_DEP_1)
	v_fma_f64 v[40:41], v[98:99], v[18:19], v[40:41]
	v_fma_f64 v[40:41], v[100:101], v[58:59], v[40:41]
	s_delay_alu instid0(VALU_DEP_1)
	v_fma_f64 v[12:13], v[0:1], v[40:41], v[122:123]
	scratch_store_b128 off, v[10:13], off offset:1464 ; 16-byte Folded Spill
	s_clause 0x1
	scratch_load_b64 v[12:13], off, off offset:1808
	scratch_load_b64 v[10:11], off, off offset:1800
	s_wait_loadcnt 0x1
	v_fma_f64 v[74:75], v[12:13], v[52:53], v[4:5]
	s_wait_loadcnt 0x0
	v_fma_f64 v[4:5], v[10:11], v[52:53], v[4:5]
	v_fma_f64 v[72:73], v[12:13], v[76:77], v[8:9]
	;; [unrolled: 1-line block ×5, first 2 shown]
	v_mul_f64_e32 v[26:27], v[96:97], v[74:75]
	v_mul_f64_e32 v[30:31], v[96:97], v[4:5]
	s_delay_alu instid0(VALU_DEP_2) | instskip(NEXT) | instid1(VALU_DEP_2)
	v_fma_f64 v[26:27], v[98:99], v[72:73], v[26:27]
	v_fma_f64 v[30:31], v[98:99], v[8:9], v[30:31]
	s_delay_alu instid0(VALU_DEP_2) | instskip(NEXT) | instid1(VALU_DEP_2)
	v_fma_f64 v[26:27], v[100:101], v[76:77], v[26:27]
	v_fma_f64 v[30:31], v[100:101], v[84:85], v[30:31]
	;; [unrolled: 3-line block ×3, first 2 shown]
	v_mul_f64_e32 v[26:27], v[64:65], v[102:103]
	v_mul_f64_e32 v[30:31], v[64:65], v[246:247]
	scratch_store_b128 off, v[10:13], off offset:1256 ; 16-byte Folded Spill
	v_fma_f64 v[26:27], v[20:21], v[104:105], v[26:27]
	v_fma_f64 v[30:31], v[20:21], v[242:243], v[30:31]
	s_delay_alu instid0(VALU_DEP_2) | instskip(NEXT) | instid1(VALU_DEP_2)
	v_fma_f64 v[26:27], v[22:23], v[28:29], v[26:27]
	v_fma_f64 v[30:31], v[22:23], v[244:245], v[30:31]
	s_delay_alu instid0(VALU_DEP_2) | instskip(NEXT) | instid1(VALU_DEP_2)
	v_fma_f64 v[44:45], v[0:1], v[26:27], v[80:81]
	v_fma_f64 v[46:47], v[0:1], v[30:31], v[82:83]
	v_mul_f64_e32 v[26:27], v[64:65], v[106:107]
	v_mul_f64_e32 v[30:31], v[64:65], v[70:71]
	s_delay_alu instid0(VALU_DEP_2) | instskip(NEXT) | instid1(VALU_DEP_2)
	v_fma_f64 v[26:27], v[20:21], v[108:109], v[26:27]
	v_fma_f64 v[30:31], v[20:21], v[66:67], v[30:31]
	s_delay_alu instid0(VALU_DEP_2) | instskip(NEXT) | instid1(VALU_DEP_2)
	v_fma_f64 v[26:27], v[22:23], v[110:111], v[26:27]
	v_fma_f64 v[30:31], v[22:23], v[68:69], v[30:31]
	;; [unrolled: 3-line block ×3, first 2 shown]
	v_mul_f64_e32 v[26:27], v[64:65], v[204:205]
	v_mul_f64_e32 v[30:31], v[64:65], v[2:3]
	s_delay_alu instid0(VALU_DEP_2) | instskip(NEXT) | instid1(VALU_DEP_2)
	v_fma_f64 v[26:27], v[20:21], v[190:191], v[26:27]
	v_fma_f64 v[30:31], v[20:21], v[248:249], v[30:31]
	s_delay_alu instid0(VALU_DEP_2) | instskip(NEXT) | instid1(VALU_DEP_2)
	v_fma_f64 v[26:27], v[22:23], v[188:189], v[26:27]
	v_fma_f64 v[30:31], v[22:23], v[88:89], v[30:31]
	;; [unrolled: 3-line block ×3, first 2 shown]
	v_mul_f64_e32 v[26:27], v[64:65], v[212:213]
	v_mul_f64_e32 v[30:31], v[64:65], v[36:37]
	scratch_store_b128 off, v[10:13], off offset:1480 ; 16-byte Folded Spill
	v_fma_f64 v[26:27], v[20:21], v[78:79], v[26:27]
	v_fma_f64 v[30:31], v[20:21], v[18:19], v[30:31]
	s_delay_alu instid0(VALU_DEP_2) | instskip(NEXT) | instid1(VALU_DEP_2)
	v_fma_f64 v[26:27], v[22:23], v[214:215], v[26:27]
	v_fma_f64 v[30:31], v[22:23], v[58:59], v[30:31]
	s_delay_alu instid0(VALU_DEP_2) | instskip(NEXT) | instid1(VALU_DEP_2)
	v_fma_f64 v[10:11], v[0:1], v[26:27], v[130:131]
	v_fma_f64 v[12:13], v[0:1], v[30:31], v[132:133]
	v_mul_f64_e32 v[26:27], v[64:65], v[74:75]
	v_mul_f64_e32 v[30:31], v[64:65], v[4:5]
	scratch_store_b128 off, v[10:13], off offset:1352 ; 16-byte Folded Spill
	v_fma_f64 v[26:27], v[20:21], v[72:73], v[26:27]
	v_fma_f64 v[30:31], v[20:21], v[8:9], v[30:31]
	s_delay_alu instid0(VALU_DEP_2) | instskip(NEXT) | instid1(VALU_DEP_2)
	v_fma_f64 v[26:27], v[22:23], v[76:77], v[26:27]
	v_fma_f64 v[30:31], v[22:23], v[84:85], v[30:31]
	s_delay_alu instid0(VALU_DEP_2) | instskip(NEXT) | instid1(VALU_DEP_2)
	v_fma_f64 v[10:11], v[0:1], v[26:27], v[200:201]
	v_fma_f64 v[12:13], v[0:1], v[30:31], v[202:203]
	;; [unrolled: 11-line block ×3, first 2 shown]
	v_mul_f64_e32 v[26:27], v[102:103], v[106:107]
	v_mul_f64_e32 v[30:31], v[102:103], v[70:71]
	s_delay_alu instid0(VALU_DEP_2) | instskip(NEXT) | instid1(VALU_DEP_2)
	v_fma_f64 v[26:27], v[104:105], v[108:109], v[26:27]
	v_fma_f64 v[30:31], v[104:105], v[66:67], v[30:31]
	s_delay_alu instid0(VALU_DEP_2) | instskip(NEXT) | instid1(VALU_DEP_2)
	v_fma_f64 v[26:27], v[28:29], v[110:111], v[26:27]
	v_fma_f64 v[30:31], v[28:29], v[68:69], v[30:31]
	;; [unrolled: 3-line block ×3, first 2 shown]
	v_mul_f64_e32 v[26:27], v[102:103], v[204:205]
	v_mul_f64_e32 v[30:31], v[102:103], v[2:3]
	scratch_store_b128 off, v[10:13], off offset:1336 ; 16-byte Folded Spill
	v_fma_f64 v[26:27], v[104:105], v[190:191], v[26:27]
	v_fma_f64 v[30:31], v[104:105], v[248:249], v[30:31]
	s_delay_alu instid0(VALU_DEP_2) | instskip(NEXT) | instid1(VALU_DEP_2)
	v_fma_f64 v[26:27], v[28:29], v[188:189], v[26:27]
	v_fma_f64 v[30:31], v[28:29], v[88:89], v[30:31]
	s_delay_alu instid0(VALU_DEP_2) | instskip(NEXT) | instid1(VALU_DEP_2)
	v_fma_f64 v[10:11], v[0:1], v[26:27], v[250:251]
	v_fma_f64 v[12:13], v[0:1], v[30:31], v[252:253]
	v_mul_f64_e32 v[26:27], v[102:103], v[212:213]
	v_mul_f64_e32 v[30:31], v[102:103], v[36:37]
	scratch_store_b128 off, v[10:13], off offset:1320 ; 16-byte Folded Spill
	v_fma_f64 v[26:27], v[104:105], v[78:79], v[26:27]
	v_fma_f64 v[30:31], v[104:105], v[18:19], v[30:31]
	s_delay_alu instid0(VALU_DEP_2) | instskip(NEXT) | instid1(VALU_DEP_2)
	v_fma_f64 v[26:27], v[28:29], v[214:215], v[26:27]
	v_fma_f64 v[30:31], v[28:29], v[58:59], v[30:31]
	s_delay_alu instid0(VALU_DEP_2) | instskip(NEXT) | instid1(VALU_DEP_2)
	v_fma_f64 v[10:11], v[0:1], v[26:27], v[228:229]
	v_fma_f64 v[12:13], v[0:1], v[30:31], v[230:231]
	;; [unrolled: 11-line block ×3, first 2 shown]
	scratch_load_b128 v[26:29], off, off offset:1184 th:TH_LOAD_LU ; 16-byte Folded Reload
	scratch_store_b128 off, v[10:13], off offset:1272 ; 16-byte Folded Spill
	v_mul_f64_e32 v[10:11], v[246:247], v[106:107]
	v_mul_f64_e32 v[12:13], v[246:247], v[70:71]
	s_delay_alu instid0(VALU_DEP_2) | instskip(NEXT) | instid1(VALU_DEP_2)
	v_fma_f64 v[10:11], v[242:243], v[108:109], v[10:11]
	v_fma_f64 v[12:13], v[242:243], v[66:67], v[12:13]
	s_delay_alu instid0(VALU_DEP_2) | instskip(NEXT) | instid1(VALU_DEP_2)
	v_fma_f64 v[10:11], v[244:245], v[110:111], v[10:11]
	v_fma_f64 v[12:13], v[244:245], v[68:69], v[12:13]
	s_delay_alu instid0(VALU_DEP_2) | instskip(NEXT) | instid1(VALU_DEP_2)
	v_fma_f64 v[10:11], v[0:1], v[10:11], v[224:225]
	v_fma_f64 v[12:13], v[0:1], v[12:13], v[226:227]
	scratch_store_b128 off, v[10:13], off offset:1416 ; 16-byte Folded Spill
	v_mul_f64_e32 v[10:11], v[246:247], v[204:205]
	v_mul_f64_e32 v[12:13], v[246:247], v[2:3]
	s_delay_alu instid0(VALU_DEP_2) | instskip(NEXT) | instid1(VALU_DEP_2)
	v_fma_f64 v[10:11], v[242:243], v[190:191], v[10:11]
	v_fma_f64 v[12:13], v[242:243], v[248:249], v[12:13]
	s_delay_alu instid0(VALU_DEP_2) | instskip(NEXT) | instid1(VALU_DEP_2)
	v_fma_f64 v[10:11], v[244:245], v[188:189], v[10:11]
	v_fma_f64 v[12:13], v[244:245], v[88:89], v[12:13]
	s_delay_alu instid0(VALU_DEP_2) | instskip(NEXT) | instid1(VALU_DEP_2)
	v_fma_f64 v[10:11], v[0:1], v[10:11], v[176:177]
	v_fma_f64 v[12:13], v[0:1], v[12:13], v[178:179]
	;; [unrolled: 12-line block ×5, first 2 shown]
	v_mul_f64_e32 v[10:11], v[106:107], v[204:205]
	v_mul_f64_e32 v[12:13], v[106:107], v[2:3]
	s_delay_alu instid0(VALU_DEP_2) | instskip(NEXT) | instid1(VALU_DEP_2)
	v_fma_f64 v[10:11], v[108:109], v[190:191], v[10:11]
	v_fma_f64 v[12:13], v[108:109], v[248:249], v[12:13]
	s_delay_alu instid0(VALU_DEP_2) | instskip(NEXT) | instid1(VALU_DEP_2)
	v_fma_f64 v[10:11], v[110:111], v[188:189], v[10:11]
	v_fma_f64 v[12:13], v[110:111], v[88:89], v[12:13]
	;; [unrolled: 3-line block ×3, first 2 shown]
	v_mul_f64_e32 v[10:11], v[106:107], v[212:213]
	v_mul_f64_e32 v[12:13], v[106:107], v[36:37]
	v_dual_mov_b32 v156, v162 :: v_dual_mov_b32 v157, v163
	v_dual_mov_b32 v158, v46 :: v_dual_mov_b32 v159, v47
	s_delay_alu instid0(VALU_DEP_4) | instskip(NEXT) | instid1(VALU_DEP_4)
	v_fma_f64 v[10:11], v[108:109], v[78:79], v[10:11]
	v_fma_f64 v[12:13], v[108:109], v[18:19], v[12:13]
	s_delay_alu instid0(VALU_DEP_2) | instskip(NEXT) | instid1(VALU_DEP_2)
	v_fma_f64 v[10:11], v[110:111], v[214:215], v[10:11]
	v_fma_f64 v[12:13], v[110:111], v[58:59], v[12:13]
	s_delay_alu instid0(VALU_DEP_2) | instskip(NEXT) | instid1(VALU_DEP_2)
	v_fma_f64 v[10:11], v[0:1], v[10:11], v[164:165]
	v_fma_f64 v[12:13], v[0:1], v[12:13], v[166:167]
	scratch_store_b128 off, v[10:13], off offset:1448 ; 16-byte Folded Spill
	v_mul_f64_e32 v[10:11], v[106:107], v[74:75]
	v_mul_f64_e32 v[12:13], v[106:107], v[4:5]
	s_delay_alu instid0(VALU_DEP_2) | instskip(NEXT) | instid1(VALU_DEP_2)
	v_fma_f64 v[10:11], v[108:109], v[72:73], v[10:11]
	v_fma_f64 v[12:13], v[108:109], v[8:9], v[12:13]
	s_delay_alu instid0(VALU_DEP_2) | instskip(NEXT) | instid1(VALU_DEP_2)
	v_fma_f64 v[10:11], v[110:111], v[76:77], v[10:11]
	v_fma_f64 v[12:13], v[110:111], v[84:85], v[12:13]
	;; [unrolled: 3-line block ×3, first 2 shown]
	scratch_store_b128 off, v[10:13], off offset:1432 ; 16-byte Folded Spill
	v_mul_f64_e32 v[10:11], v[70:71], v[204:205]
	v_mul_f64_e32 v[12:13], v[70:71], v[2:3]
	s_delay_alu instid0(VALU_DEP_2) | instskip(NEXT) | instid1(VALU_DEP_2)
	v_fma_f64 v[10:11], v[66:67], v[190:191], v[10:11]
	v_fma_f64 v[12:13], v[66:67], v[248:249], v[12:13]
	s_delay_alu instid0(VALU_DEP_2) | instskip(NEXT) | instid1(VALU_DEP_2)
	v_fma_f64 v[10:11], v[68:69], v[188:189], v[10:11]
	v_fma_f64 v[12:13], v[68:69], v[88:89], v[12:13]
	s_delay_alu instid0(VALU_DEP_2) | instskip(NEXT) | instid1(VALU_DEP_2)
	v_fma_f64 v[164:165], v[0:1], v[10:11], v[152:153]
	v_fma_f64 v[166:167], v[0:1], v[12:13], v[154:155]
	v_mul_f64_e32 v[10:11], v[70:71], v[212:213]
	v_mul_f64_e32 v[12:13], v[70:71], v[36:37]
	s_delay_alu instid0(VALU_DEP_2) | instskip(NEXT) | instid1(VALU_DEP_2)
	v_fma_f64 v[10:11], v[66:67], v[78:79], v[10:11]
	v_fma_f64 v[12:13], v[66:67], v[18:19], v[12:13]
	s_delay_alu instid0(VALU_DEP_2) | instskip(NEXT) | instid1(VALU_DEP_2)
	v_fma_f64 v[10:11], v[68:69], v[214:215], v[10:11]
	v_fma_f64 v[12:13], v[68:69], v[58:59], v[12:13]
	s_delay_alu instid0(VALU_DEP_2) | instskip(NEXT) | instid1(VALU_DEP_2)
	v_fma_f64 v[216:217], v[0:1], v[10:11], v[196:197]
	v_fma_f64 v[218:219], v[0:1], v[12:13], v[198:199]
	;; [unrolled: 11-line block ×3, first 2 shown]
	v_mul_f64_e32 v[10:11], v[204:205], v[204:205]
	v_mul_f64_e32 v[12:13], v[204:205], v[2:3]
	s_delay_alu instid0(VALU_DEP_2) | instskip(NEXT) | instid1(VALU_DEP_2)
	v_fma_f64 v[10:11], v[190:191], v[190:191], v[10:11]
	v_fma_f64 v[12:13], v[190:191], v[248:249], v[12:13]
	s_delay_alu instid0(VALU_DEP_2) | instskip(NEXT) | instid1(VALU_DEP_2)
	v_fma_f64 v[10:11], v[188:189], v[188:189], v[10:11]
	v_fma_f64 v[12:13], v[188:189], v[88:89], v[12:13]
	s_wait_loadcnt 0x0
	s_delay_alu instid0(VALU_DEP_2) | instskip(NEXT) | instid1(VALU_DEP_2)
	v_fma_f64 v[104:105], v[0:1], v[10:11], v[26:27]
	v_fma_f64 v[106:107], v[0:1], v[12:13], v[28:29]
	v_mul_f64_e32 v[10:11], v[204:205], v[212:213]
	v_mul_f64_e32 v[12:13], v[204:205], v[36:37]
	scratch_load_b128 v[26:29], off, off offset:1168 th:TH_LOAD_LU ; 16-byte Folded Reload
	v_fma_f64 v[10:11], v[190:191], v[78:79], v[10:11]
	v_fma_f64 v[12:13], v[190:191], v[18:19], v[12:13]
	s_delay_alu instid0(VALU_DEP_2) | instskip(NEXT) | instid1(VALU_DEP_2)
	v_fma_f64 v[10:11], v[188:189], v[214:215], v[10:11]
	v_fma_f64 v[12:13], v[188:189], v[58:59], v[12:13]
	s_delay_alu instid0(VALU_DEP_2) | instskip(NEXT) | instid1(VALU_DEP_2)
	v_fma_f64 v[10:11], v[0:1], v[10:11], v[184:185]
	v_fma_f64 v[12:13], v[0:1], v[12:13], v[186:187]
	scratch_store_b128 off, v[10:13], off offset:1512 ; 16-byte Folded Spill
	v_mul_f64_e32 v[10:11], v[204:205], v[74:75]
	v_mul_f64_e32 v[12:13], v[204:205], v[4:5]
	s_delay_alu instid0(VALU_DEP_2) | instskip(NEXT) | instid1(VALU_DEP_2)
	v_fma_f64 v[10:11], v[190:191], v[72:73], v[10:11]
	v_fma_f64 v[12:13], v[190:191], v[8:9], v[12:13]
	s_delay_alu instid0(VALU_DEP_2) | instskip(NEXT) | instid1(VALU_DEP_2)
	v_fma_f64 v[10:11], v[188:189], v[76:77], v[10:11]
	v_fma_f64 v[12:13], v[188:189], v[84:85], v[12:13]
	;; [unrolled: 3-line block ×3, first 2 shown]
	scratch_store_b128 off, v[10:13], off offset:1496 ; 16-byte Folded Spill
	v_mul_f64_e32 v[10:11], v[2:3], v[212:213]
	v_mul_f64_e32 v[12:13], v[2:3], v[36:37]
	s_delay_alu instid0(VALU_DEP_2) | instskip(NEXT) | instid1(VALU_DEP_2)
	v_fma_f64 v[10:11], v[248:249], v[78:79], v[10:11]
	v_fma_f64 v[12:13], v[248:249], v[18:19], v[12:13]
	s_delay_alu instid0(VALU_DEP_2) | instskip(NEXT) | instid1(VALU_DEP_2)
	v_fma_f64 v[10:11], v[88:89], v[214:215], v[10:11]
	v_fma_f64 v[12:13], v[88:89], v[58:59], v[12:13]
	;; [unrolled: 3-line block ×3, first 2 shown]
	v_mul_f64_e32 v[10:11], v[2:3], v[74:75]
	v_mul_f64_e32 v[12:13], v[2:3], v[4:5]
	;; [unrolled: 1-line block ×3, first 2 shown]
	s_delay_alu instid0(VALU_DEP_3) | instskip(NEXT) | instid1(VALU_DEP_3)
	v_fma_f64 v[10:11], v[248:249], v[72:73], v[10:11]
	v_fma_f64 v[12:13], v[248:249], v[8:9], v[12:13]
	s_delay_alu instid0(VALU_DEP_3) | instskip(NEXT) | instid1(VALU_DEP_3)
	v_fma_f64 v[2:3], v[248:249], v[248:249], v[2:3]
	v_fma_f64 v[10:11], v[88:89], v[76:77], v[10:11]
	;; [unrolled: 3-line block ×4, first 2 shown]
	v_mul_f64_e32 v[10:11], v[212:213], v[212:213]
	v_mul_f64_e32 v[12:13], v[212:213], v[36:37]
	v_fma_f64 v[248:249], v[0:1], v[2:3], v[6:7]
	s_delay_alu instid0(VALU_DEP_3) | instskip(NEXT) | instid1(VALU_DEP_3)
	v_fma_f64 v[10:11], v[78:79], v[78:79], v[10:11]
	v_fma_f64 v[12:13], v[78:79], v[18:19], v[12:13]
	s_delay_alu instid0(VALU_DEP_2) | instskip(NEXT) | instid1(VALU_DEP_2)
	v_fma_f64 v[10:11], v[214:215], v[214:215], v[10:11]
	v_fma_f64 v[12:13], v[214:215], v[58:59], v[12:13]
	s_wait_loadcnt 0x0
	s_delay_alu instid0(VALU_DEP_2) | instskip(NEXT) | instid1(VALU_DEP_2)
	v_fma_f64 v[40:41], v[0:1], v[10:11], v[26:27]
	v_fma_f64 v[42:43], v[0:1], v[12:13], v[28:29]
	scratch_load_b128 v[26:29], off, off offset:1200 th:TH_LOAD_LU ; 16-byte Folded Reload
	v_mul_f64_e32 v[10:11], v[212:213], v[74:75]
	v_mul_f64_e32 v[12:13], v[212:213], v[4:5]
	s_delay_alu instid0(VALU_DEP_2) | instskip(NEXT) | instid1(VALU_DEP_2)
	v_fma_f64 v[10:11], v[78:79], v[72:73], v[10:11]
	v_fma_f64 v[12:13], v[78:79], v[8:9], v[12:13]
	s_delay_alu instid0(VALU_DEP_2) | instskip(NEXT) | instid1(VALU_DEP_2)
	v_fma_f64 v[10:11], v[214:215], v[76:77], v[10:11]
	v_fma_f64 v[12:13], v[214:215], v[84:85], v[12:13]
	s_wait_loadcnt 0x0
	s_delay_alu instid0(VALU_DEP_2) | instskip(NEXT) | instid1(VALU_DEP_2)
	v_fma_f64 v[100:101], v[0:1], v[10:11], v[26:27]
	v_fma_f64 v[102:103], v[0:1], v[12:13], v[28:29]
	scratch_load_b128 v[26:29], off, off offset:1152 th:TH_LOAD_LU ; 16-byte Folded Reload
	v_mul_f64_e32 v[10:11], v[36:37], v[74:75]
	v_mul_f64_e32 v[12:13], v[36:37], v[4:5]
	s_delay_alu instid0(VALU_DEP_2) | instskip(NEXT) | instid1(VALU_DEP_2)
	v_fma_f64 v[10:11], v[18:19], v[72:73], v[10:11]
	v_fma_f64 v[12:13], v[18:19], v[8:9], v[12:13]
	s_delay_alu instid0(VALU_DEP_2) | instskip(NEXT) | instid1(VALU_DEP_2)
	v_fma_f64 v[10:11], v[58:59], v[76:77], v[10:11]
	v_fma_f64 v[12:13], v[58:59], v[84:85], v[12:13]
	s_delay_alu instid0(VALU_DEP_2) | instskip(SKIP_1) | instid1(VALU_DEP_3)
	v_fma_f64 v[152:153], v[0:1], v[10:11], v[136:137]
	v_mul_f64_e32 v[10:11], v[74:75], v[74:75]
	v_fma_f64 v[154:155], v[0:1], v[12:13], v[138:139]
	v_mul_f64_e32 v[12:13], v[74:75], v[4:5]
	s_delay_alu instid0(VALU_DEP_3) | instskip(NEXT) | instid1(VALU_DEP_2)
	v_fma_f64 v[10:11], v[72:73], v[72:73], v[10:11]
	v_fma_f64 v[12:13], v[72:73], v[8:9], v[12:13]
	s_delay_alu instid0(VALU_DEP_2) | instskip(NEXT) | instid1(VALU_DEP_2)
	v_fma_f64 v[10:11], v[76:77], v[76:77], v[10:11]
	v_fma_f64 v[12:13], v[76:77], v[84:85], v[12:13]
	s_wait_loadcnt 0x0
	s_delay_alu instid0(VALU_DEP_2) | instskip(SKIP_1) | instid1(VALU_DEP_3)
	v_fma_f64 v[114:115], v[0:1], v[10:11], v[26:27]
	v_add_f64_e64 v[10:11], |v[62:63]|, s[2:3]
	v_fma_f64 v[116:117], v[0:1], v[12:13], v[28:29]
	s_delay_alu instid0(VALU_DEP_2) | instskip(NEXT) | instid1(VALU_DEP_1)
	v_div_scale_f64 v[12:13], null, v[10:11], v[10:11], 1.0
	v_rcp_f64_e32 v[26:27], v[12:13]
	s_delay_alu instid0(TRANS32_DEP_1) | instskip(NEXT) | instid1(VALU_DEP_1)
	v_fma_f64 v[28:29], -v[12:13], v[26:27], 1.0
	v_fma_f64 v[26:27], v[26:27], v[28:29], v[26:27]
	s_delay_alu instid0(VALU_DEP_1) | instskip(NEXT) | instid1(VALU_DEP_1)
	v_fma_f64 v[28:29], -v[12:13], v[26:27], 1.0
	v_fma_f64 v[26:27], v[26:27], v[28:29], v[26:27]
	v_div_scale_f64 v[28:29], vcc_lo, 1.0, v[10:11], 1.0
	s_delay_alu instid0(VALU_DEP_1) | instskip(NEXT) | instid1(VALU_DEP_1)
	v_mul_f64_e32 v[30:31], v[28:29], v[26:27]
	v_fma_f64 v[12:13], -v[12:13], v[30:31], v[28:29]
	s_wait_alu 0xfffd
	s_delay_alu instid0(VALU_DEP_1) | instskip(NEXT) | instid1(VALU_DEP_1)
	v_div_fmas_f64 v[12:13], v[12:13], v[26:27], v[30:31]
	v_div_fixup_f64 v[10:11], v[12:13], v[10:11], 1.0
	v_mul_f64_e32 v[12:13], v[64:65], v[64:65]
	s_delay_alu instid0(VALU_DEP_2)
	v_mul_f64_e32 v[180:181], v[60:61], v[10:11]
	v_mul_f64_e32 v[184:185], v[56:57], v[10:11]
	;; [unrolled: 1-line block ×9, first 2 shown]
	v_fma_f64 v[12:13], v[20:21], v[20:21], v[12:13]
	v_mul_f64_e32 v[60:61], 0, v[180:181]
	v_mul_f64_e32 v[82:83], 0, v[184:185]
	;; [unrolled: 1-line block ×6, first 2 shown]
	v_fma_f64 v[12:13], v[22:23], v[22:23], v[12:13]
	v_fma_f64 v[10:11], v[184:185], -v[148:149], v[60:61]
	s_delay_alu instid0(VALU_DEP_2) | instskip(NEXT) | instid1(VALU_DEP_2)
	v_fma_f64 v[20:21], v[0:1], v[12:13], v[150:151]
	v_fma_f64 v[62:63], v[16:17], v[28:29], v[10:11]
	v_fma_f64 v[10:11], v[182:183], -v[148:149], v[186:187]
	s_delay_alu instid0(VALU_DEP_1) | instskip(SKIP_1) | instid1(VALU_DEP_1)
	v_fma_f64 v[50:51], v[16:17], v[26:27], v[10:11]
	v_fma_f64 v[10:11], v[34:35], -v[148:149], v[192:193]
	v_fma_f64 v[48:49], v[16:17], v[24:25], v[10:11]
	v_fma_f64 v[10:11], v[184:185], -s[8:9], v[60:61]
	s_delay_alu instid0(VALU_DEP_1) | instskip(SKIP_1) | instid1(VALU_DEP_1)
	v_fma_f64 v[188:189], -v[28:29], v[16:17], v[10:11]
	v_fma_f64 v[10:11], v[182:183], -s[8:9], v[186:187]
	v_fma_f64 v[240:241], -v[26:27], v[16:17], v[10:11]
	v_fma_f64 v[10:11], v[34:35], -s[8:9], v[192:193]
	s_delay_alu instid0(VALU_DEP_2) | instskip(NEXT) | instid1(VALU_DEP_2)
	v_mul_f64_e32 v[12:13], v[50:51], v[240:241]
	v_fma_f64 v[76:77], -v[24:25], v[16:17], v[10:11]
	v_mul_f64_e32 v[10:11], v[50:51], v[50:51]
	s_delay_alu instid0(VALU_DEP_3) | instskip(NEXT) | instid1(VALU_DEP_2)
	v_fma_f64 v[12:13], v[62:63], v[188:189], v[12:13]
	v_fma_f64 v[10:11], v[62:63], v[62:63], v[10:11]
	s_delay_alu instid0(VALU_DEP_2) | instskip(NEXT) | instid1(VALU_DEP_2)
	v_fma_f64 v[12:13], v[48:49], v[76:77], v[12:13]
	v_fma_f64 v[10:11], v[48:49], v[48:49], v[10:11]
	s_delay_alu instid0(VALU_DEP_2) | instskip(NEXT) | instid1(VALU_DEP_2)
	v_fma_f64 v[12:13], v[0:1], v[12:13], v[222:223]
	v_fma_f64 v[10:11], v[0:1], v[10:11], v[220:221]
	s_clause 0x1
	scratch_store_b128 off, v[10:13], off offset:1528
	scratch_store_b128 off, v[220:223], off
	v_dual_mov_b32 v12, v20 :: v_dual_mov_b32 v13, v21
	v_dual_mov_b32 v10, v222 :: v_dual_mov_b32 v11, v223
	scratch_store_b128 off, v[10:13], off offset:1544 ; 16-byte Folded Spill
	v_fma_f64 v[10:11], v[118:119], v[180:181], v[82:83]
	s_delay_alu instid0(VALU_DEP_1) | instskip(SKIP_1) | instid1(VALU_DEP_1)
	v_fma_f64 v[96:97], v[28:29], -v[16:17], v[10:11]
	v_fma_f64 v[10:11], v[118:119], v[32:33], v[120:121]
	v_fma_f64 v[130:131], v[26:27], -v[16:17], v[10:11]
	v_fma_f64 v[10:11], v[118:119], v[30:31], v[56:57]
	s_delay_alu instid0(VALU_DEP_1) | instskip(SKIP_1) | instid1(VALU_DEP_1)
	v_fma_f64 v[98:99], v[24:25], -v[16:17], v[10:11]
	v_fma_f64 v[10:11], s[6:7], v[180:181], v[82:83]
	v_fma_f64 v[72:73], v[16:17], v[28:29], v[10:11]
	;; [unrolled: 1-line block ×3, first 2 shown]
	s_delay_alu instid0(VALU_DEP_1) | instskip(SKIP_1) | instid1(VALU_DEP_2)
	v_fma_f64 v[14:15], v[16:17], v[26:27], v[10:11]
	v_fma_f64 v[10:11], s[6:7], v[30:31], v[56:57]
	v_mul_f64_e32 v[12:13], v[130:131], v[14:15]
	s_delay_alu instid0(VALU_DEP_2) | instskip(SKIP_1) | instid1(VALU_DEP_3)
	v_fma_f64 v[150:151], v[16:17], v[24:25], v[10:11]
	v_mul_f64_e32 v[10:11], v[70:71], v[70:71]
	v_fma_f64 v[12:13], v[96:97], v[72:73], v[12:13]
	s_delay_alu instid0(VALU_DEP_2) | instskip(NEXT) | instid1(VALU_DEP_2)
	v_fma_f64 v[10:11], v[66:67], v[66:67], v[10:11]
	v_fma_f64 v[12:13], v[98:99], v[150:151], v[12:13]
	s_delay_alu instid0(VALU_DEP_2) | instskip(NEXT) | instid1(VALU_DEP_2)
	v_fma_f64 v[10:11], v[68:69], v[68:69], v[10:11]
	v_fma_f64 v[12:13], v[0:1], v[12:13], v[170:171]
	s_delay_alu instid0(VALU_DEP_2) | instskip(SKIP_1) | instid1(VALU_DEP_1)
	v_fma_f64 v[16:17], v[0:1], v[10:11], v[112:113]
	v_mul_f64_e32 v[10:11], v[130:131], v[130:131]
	v_fma_f64 v[10:11], v[96:97], v[96:97], v[10:11]
	s_delay_alu instid0(VALU_DEP_1) | instskip(NEXT) | instid1(VALU_DEP_1)
	v_fma_f64 v[10:11], v[98:99], v[98:99], v[10:11]
	v_fma_f64 v[10:11], v[0:1], v[10:11], v[168:169]
	s_clause 0x1
	scratch_store_b128 off, v[10:13], off offset:1576
	scratch_store_b128 off, v[168:171], off offset:416
	v_dual_mov_b32 v12, v16 :: v_dual_mov_b32 v13, v17
	v_dual_mov_b32 v10, v170 :: v_dual_mov_b32 v11, v171
	v_mul_f64_e32 v[16:17], v[148:149], v[34:35]
	scratch_store_b128 off, v[10:13], off offset:1560 ; 16-byte Folded Spill
	v_mul_f64_e32 v[10:11], v[36:37], v[36:37]
	v_mul_f64_e32 v[12:13], v[148:149], v[182:183]
	s_delay_alu instid0(VALU_DEP_2) | instskip(SKIP_2) | instid1(VALU_DEP_4)
	v_fma_f64 v[10:11], v[18:19], v[18:19], v[10:11]
	v_fma_f64 v[18:19], v[30:31], -v[118:119], v[16:17]
	v_mul_f64_e64 v[16:17], v[184:185], -v[148:149]
	v_fma_f64 v[12:13], v[32:33], -v[118:119], v[12:13]
	s_delay_alu instid0(VALU_DEP_4) | instskip(NEXT) | instid1(VALU_DEP_4)
	v_fma_f64 v[10:11], v[58:59], v[58:59], v[10:11]
	v_fma_f64 v[64:65], v[24:25], 0, v[18:19]
	s_delay_alu instid0(VALU_DEP_4)
	v_fma_f64 v[20:21], v[180:181], -s[6:7], v[16:17]
	v_mul_f64_e64 v[16:17], v[182:183], -v[148:149]
	v_fma_f64 v[18:19], v[148:149], v[182:183], v[186:187]
	v_fma_f64 v[58:59], v[0:1], v[10:11], v[90:91]
	v_mul_f64_e32 v[10:11], v[148:149], v[184:185]
	v_fma_f64 v[38:39], v[28:29], 0, v[20:21]
	v_fma_f64 v[22:23], v[32:33], -s[6:7], v[16:17]
	v_mul_f64_e64 v[16:17], v[34:35], -v[148:149]
	v_fma_f64 v[74:75], s[10:11], v[26:27], v[18:19]
	v_fma_f64 v[10:11], v[180:181], -v[118:119], v[10:11]
	s_delay_alu instid0(VALU_DEP_4) | instskip(NEXT) | instid1(VALU_DEP_4)
	v_fma_f64 v[210:211], v[26:27], 0, v[22:23]
	v_fma_f64 v[36:37], v[30:31], -s[6:7], v[16:17]
	v_fma_f64 v[16:17], v[26:27], 0, v[12:13]
	v_fma_f64 v[22:23], s[8:9], v[182:183], v[186:187]
	;; [unrolled: 1-line block ×3, first 2 shown]
	s_delay_alu instid0(VALU_DEP_4) | instskip(NEXT) | instid1(VALU_DEP_4)
	v_fma_f64 v[112:113], v[24:25], 0, v[36:37]
	v_mul_f64_e32 v[10:11], v[16:17], v[16:17]
	v_mul_f64_e32 v[12:13], v[16:17], v[210:211]
	v_fma_f64 v[22:23], -v[26:27], s[10:11], v[22:23]
	v_fma_f64 v[36:37], v[148:149], v[34:35], v[192:193]
	s_delay_alu instid0(VALU_DEP_4) | instskip(NEXT) | instid1(VALU_DEP_4)
	v_fma_f64 v[10:11], v[66:67], v[66:67], v[10:11]
	v_fma_f64 v[12:13], v[66:67], v[38:39], v[12:13]
	s_delay_alu instid0(VALU_DEP_3) | instskip(SKIP_1) | instid1(VALU_DEP_4)
	v_fma_f64 v[70:71], s[10:11], v[24:25], v[36:37]
	v_fma_f64 v[36:37], -v[32:33], v[118:119], v[120:121]
	v_fma_f64 v[10:11], v[64:65], v[64:65], v[10:11]
	s_delay_alu instid0(VALU_DEP_4) | instskip(NEXT) | instid1(VALU_DEP_3)
	v_fma_f64 v[12:13], v[64:65], v[112:113], v[12:13]
	v_fma_f64 v[36:37], v[26:27], -s[10:11], v[36:37]
	s_delay_alu instid0(VALU_DEP_3) | instskip(NEXT) | instid1(VALU_DEP_3)
	v_fma_f64 v[10:11], v[0:1], v[10:11], v[40:41]
	v_fma_f64 v[12:13], v[0:1], v[12:13], v[42:43]
	s_clause 0x1
	scratch_store_b128 off, v[10:13], off offset:1168
	scratch_store_b128 off, v[40:43], off offset:832
	v_dual_mov_b32 v12, v58 :: v_dual_mov_b32 v13, v59
	v_dual_mov_b32 v10, v42 :: v_dual_mov_b32 v11, v43
	v_fma_f64 v[40:41], s[8:9], v[34:35], v[192:193]
	v_fma_f64 v[42:43], -v[30:31], v[118:119], v[56:57]
	v_mul_f64_e32 v[2:3], v[36:37], v[36:37]
	v_dual_mov_b32 v58, v116 :: v_dual_mov_b32 v59, v117
	scratch_store_b128 off, v[10:13], off offset:1592 ; 16-byte Folded Spill
	v_fma_f64 v[10:11], v[148:149], v[184:185], v[60:61]
	v_fma_f64 v[12:13], s[8:9], v[184:185], v[60:61]
	v_fma_f64 v[18:19], -v[24:25], s[10:11], v[40:41]
	v_fma_f64 v[40:41], -v[32:33], s[6:7], v[120:121]
	v_fma_f64 v[124:125], v[24:25], -s[10:11], v[42:43]
	v_fma_f64 v[68:69], s[10:11], v[28:29], v[10:11]
	v_fma_f64 v[20:21], -v[28:29], s[10:11], v[12:13]
	v_mul_f64_e32 v[10:11], v[50:51], v[74:75]
	v_mul_f64_e32 v[12:13], v[50:51], v[22:23]
	v_fma_f64 v[126:127], s[10:11], v[26:27], v[40:41]
	s_delay_alu instid0(VALU_DEP_3) | instskip(NEXT) | instid1(VALU_DEP_3)
	v_fma_f64 v[10:11], v[62:63], v[68:69], v[10:11]
	v_fma_f64 v[12:13], v[62:63], v[20:21], v[12:13]
	s_delay_alu instid0(VALU_DEP_3) | instskip(NEXT) | instid1(VALU_DEP_3)
	v_mul_f64_e32 v[6:7], v[36:37], v[126:127]
	v_fma_f64 v[10:11], v[48:49], v[70:71], v[10:11]
	s_delay_alu instid0(VALU_DEP_3) | instskip(NEXT) | instid1(VALU_DEP_2)
	v_fma_f64 v[12:13], v[48:49], v[18:19], v[12:13]
	v_fma_f64 v[10:11], v[0:1], v[10:11], v[160:161]
	s_delay_alu instid0(VALU_DEP_2) | instskip(SKIP_3) | instid1(VALU_DEP_2)
	v_fma_f64 v[12:13], v[0:1], v[12:13], v[162:163]
	scratch_store_b128 off, v[10:13], off offset:1640 ; 16-byte Folded Spill
	v_mul_f64_e32 v[10:11], v[240:241], v[74:75]
	v_mul_f64_e32 v[12:13], v[240:241], v[22:23]
	v_fma_f64 v[10:11], v[188:189], v[68:69], v[10:11]
	s_delay_alu instid0(VALU_DEP_2) | instskip(NEXT) | instid1(VALU_DEP_2)
	v_fma_f64 v[12:13], v[188:189], v[20:21], v[12:13]
	v_fma_f64 v[10:11], v[76:77], v[70:71], v[10:11]
	s_delay_alu instid0(VALU_DEP_2) | instskip(NEXT) | instid1(VALU_DEP_2)
	v_fma_f64 v[12:13], v[76:77], v[18:19], v[12:13]
	v_fma_f64 v[10:11], v[0:1], v[10:11], v[44:45]
	s_delay_alu instid0(VALU_DEP_2)
	v_fma_f64 v[12:13], v[0:1], v[12:13], v[46:47]
	s_clause 0x1
	scratch_store_b128 off, v[10:13], off offset:1608
	scratch_store_b128 off, v[160:163], off offset:16
	v_mul_f64_e32 v[10:11], v[246:247], v[246:247]
	v_mul_f64_e32 v[12:13], v[74:75], v[22:23]
	v_dual_mov_b32 v162, v44 :: v_dual_mov_b32 v163, v45
	s_clause 0x1
	scratch_store_b128 off, v[44:47], off offset:112
	scratch_store_b128 off, v[200:203], off offset:208
	v_fma_f64 v[44:45], -v[30:31], s[6:7], v[56:57]
	v_dual_mov_b32 v246, v106 :: v_dual_mov_b32 v247, v107
	v_fma_f64 v[10:11], v[242:243], v[242:243], v[10:11]
	v_fma_f64 v[12:13], v[68:69], v[20:21], v[12:13]
	v_dual_mov_b32 v242, v202 :: v_dual_mov_b32 v243, v203
	v_fma_f64 v[128:129], s[10:11], v[24:25], v[44:45]
	s_delay_alu instid0(VALU_DEP_4) | instskip(NEXT) | instid1(VALU_DEP_4)
	v_fma_f64 v[10:11], v[244:245], v[244:245], v[10:11]
	v_fma_f64 v[12:13], v[70:71], v[18:19], v[12:13]
	s_delay_alu instid0(VALU_DEP_2) | instskip(SKIP_1) | instid1(VALU_DEP_3)
	v_fma_f64 v[244:245], v[0:1], v[10:11], v[86:87]
	v_mul_f64_e32 v[10:11], v[74:75], v[74:75]
	v_fma_f64 v[12:13], v[0:1], v[12:13], v[202:203]
	s_delay_alu instid0(VALU_DEP_2) | instskip(NEXT) | instid1(VALU_DEP_1)
	v_fma_f64 v[10:11], v[68:69], v[68:69], v[10:11]
	v_fma_f64 v[10:11], v[70:71], v[70:71], v[10:11]
	s_delay_alu instid0(VALU_DEP_1)
	v_fma_f64 v[10:11], v[0:1], v[10:11], v[200:201]
	scratch_store_b128 off, v[160:163], off offset:1624 ; 16-byte Folded Spill
	v_dual_mov_b32 v160, v178 :: v_dual_mov_b32 v161, v179
	v_dual_mov_b32 v162, v166 :: v_dual_mov_b32 v163, v167
	scratch_store_b128 off, v[10:13], off offset:1672 ; 16-byte Folded Spill
	v_fma_f64 v[10:11], -v[180:181], v[118:119], v[82:83]
	v_fma_f64 v[12:13], -v[180:181], s[6:7], v[82:83]
	v_dual_mov_b32 v82, v118 :: v_dual_mov_b32 v83, v119
	s_delay_alu instid0(VALU_DEP_3) | instskip(NEXT) | instid1(VALU_DEP_3)
	v_fma_f64 v[122:123], v[28:29], -s[10:11], v[10:11]
	v_fma_f64 v[56:57], s[10:11], v[28:29], v[12:13]
	v_mul_f64_e32 v[10:11], v[130:131], v[36:37]
	v_mul_f64_e32 v[12:13], v[130:131], v[126:127]
	s_mov_b64 s[10:11], s[4:5]
	s_delay_alu instid0(VALU_DEP_4) | instskip(NEXT) | instid1(VALU_DEP_4)
	v_fma_f64 v[2:3], v[122:123], v[122:123], v[2:3]
	v_fma_f64 v[6:7], v[122:123], v[56:57], v[6:7]
	s_delay_alu instid0(VALU_DEP_4) | instskip(NEXT) | instid1(VALU_DEP_4)
	v_fma_f64 v[10:11], v[96:97], v[122:123], v[10:11]
	v_fma_f64 v[12:13], v[96:97], v[56:57], v[12:13]
	;; [unrolled: 3-line block ×4, first 2 shown]
	s_delay_alu instid0(VALU_DEP_2) | instskip(NEXT) | instid1(VALU_DEP_2)
	v_fma_f64 v[10:11], v[0:1], v[10:11], v[176:177]
	v_fma_f64 v[12:13], v[0:1], v[12:13], v[178:179]
	scratch_store_b128 off, v[10:13], off offset:1704 ; 16-byte Folded Spill
	v_mul_f64_e32 v[10:11], v[14:15], v[36:37]
	v_mul_f64_e32 v[12:13], v[14:15], v[126:127]
	s_delay_alu instid0(VALU_DEP_2) | instskip(NEXT) | instid1(VALU_DEP_2)
	v_fma_f64 v[10:11], v[72:73], v[122:123], v[10:11]
	v_fma_f64 v[12:13], v[72:73], v[56:57], v[12:13]
	s_delay_alu instid0(VALU_DEP_2) | instskip(NEXT) | instid1(VALU_DEP_2)
	v_fma_f64 v[10:11], v[150:151], v[124:125], v[10:11]
	v_fma_f64 v[12:13], v[150:151], v[128:129], v[12:13]
	;; [unrolled: 3-line block ×3, first 2 shown]
	s_clause 0x1
	scratch_store_b128 off, v[10:13], off offset:1656
	scratch_store_b128 off, v[176:179], off offset:432
	v_fma_f64 v[10:11], v[0:1], v[2:3], v[104:105]
	v_fma_f64 v[12:13], v[0:1], v[6:7], v[106:107]
	v_dual_mov_b32 v178, v164 :: v_dual_mov_b32 v179, v165
	v_mul_f64_e32 v[2:3], s[8:9], v[184:185]
	v_mul_f64_e64 v[6:7], v[184:185], -s[8:9]
	s_clause 0x2
	scratch_store_b128 off, v[164:167], off offset:528
	scratch_store_b128 off, v[104:107], off offset:624
	;; [unrolled: 1-line block ×3, first 2 shown]
	v_dual_mov_b32 v104, v102 :: v_dual_mov_b32 v105, v103
	v_dual_mov_b32 v106, v154 :: v_dual_mov_b32 v107, v155
	;; [unrolled: 1-line block ×3, first 2 shown]
	scratch_store_b128 off, v[10:13], off offset:1184 ; 16-byte Folded Spill
	v_mul_f64_e32 v[10:11], s[8:9], v[182:183]
	v_mul_f64_e64 v[12:13], v[182:183], -s[8:9]
	v_fma_f64 v[2:3], v[118:119], v[180:181], v[2:3]
	v_fma_f64 v[6:7], s[6:7], v[180:181], v[6:7]
	s_delay_alu instid0(VALU_DEP_4) | instskip(NEXT) | instid1(VALU_DEP_4)
	v_fma_f64 v[10:11], v[118:119], v[32:33], v[10:11]
	v_fma_f64 v[12:13], s[6:7], v[32:33], v[12:13]
	v_mul_f64_e32 v[32:33], s[8:9], v[34:35]
	v_mul_f64_e64 v[34:35], v[34:35], -s[8:9]
	v_fma_f64 v[250:251], v[28:29], 0, v[2:3]
	v_fma_f64 v[190:191], v[28:29], 0, v[6:7]
	v_mul_f64_e32 v[28:29], v[50:51], v[36:37]
	v_fma_f64 v[252:253], v[26:27], 0, v[10:11]
	v_fma_f64 v[254:255], v[26:27], 0, v[12:13]
	;; [unrolled: 1-line block ×5, first 2 shown]
	v_mul_f64_e32 v[2:3], v[16:17], v[252:253]
	v_mul_f64_e32 v[6:7], v[16:17], v[254:255]
	v_fma_f64 v[10:11], v[24:25], 0, v[32:33]
	v_fma_f64 v[12:13], v[24:25], 0, v[30:31]
	v_mul_f64_e32 v[30:31], v[50:51], v[126:127]
	v_fma_f64 v[28:29], v[48:49], v[124:125], v[28:29]
	v_fma_f64 v[2:3], v[66:67], v[250:251], v[2:3]
	;; [unrolled: 1-line block ×3, first 2 shown]
	s_delay_alu instid0(VALU_DEP_4) | instskip(NEXT) | instid1(VALU_DEP_3)
	v_fma_f64 v[30:31], v[62:63], v[56:57], v[30:31]
	v_fma_f64 v[2:3], v[64:65], v[10:11], v[2:3]
	s_delay_alu instid0(VALU_DEP_3) | instskip(NEXT) | instid1(VALU_DEP_3)
	v_fma_f64 v[6:7], v[64:65], v[12:13], v[6:7]
	v_fma_f64 v[30:31], v[48:49], v[128:129], v[30:31]
	s_delay_alu instid0(VALU_DEP_3) | instskip(NEXT) | instid1(VALU_DEP_3)
	v_fma_f64 v[24:25], v[0:1], v[2:3], v[100:101]
	v_fma_f64 v[26:27], v[0:1], v[6:7], v[102:103]
	v_mul_f64_e32 v[2:3], v[210:211], v[252:253]
	v_mul_f64_e32 v[6:7], v[210:211], v[254:255]
	scratch_store_b128 off, v[24:27], off offset:1200 ; 16-byte Folded Spill
	v_fma_f64 v[2:3], v[38:39], v[250:251], v[2:3]
	v_fma_f64 v[6:7], v[38:39], v[190:191], v[6:7]
	s_delay_alu instid0(VALU_DEP_2) | instskip(NEXT) | instid1(VALU_DEP_2)
	v_fma_f64 v[2:3], v[112:113], v[10:11], v[2:3]
	v_fma_f64 v[6:7], v[112:113], v[12:13], v[6:7]
	s_delay_alu instid0(VALU_DEP_2) | instskip(NEXT) | instid1(VALU_DEP_2)
	v_fma_f64 v[24:25], v[0:1], v[2:3], v[152:153]
	v_fma_f64 v[26:27], v[0:1], v[6:7], v[154:155]
	s_clause 0x1
	scratch_store_b128 off, v[24:27], off offset:1736
	scratch_store_b128 off, v[100:103], off offset:848
	scratch_load_b128 v[24:27], off, off offset:1224 th:TH_LOAD_LU ; 16-byte Folded Reload
	v_mul_f64_e32 v[2:3], v[4:5], v[4:5]
	v_mul_f64_e32 v[6:7], v[252:253], v[254:255]
	s_clause 0x1
	scratch_store_b128 off, v[152:155], off offset:944
	scratch_store_b128 off, v[114:117], off offset:1040
	v_dual_mov_b32 v102, v152 :: v_dual_mov_b32 v103, v153
	v_fma_f64 v[2:3], v[8:9], v[8:9], v[2:3]
	v_fma_f64 v[6:7], v[250:251], v[190:191], v[6:7]
	v_mul_f64_e32 v[8:9], v[50:51], v[14:15]
	s_delay_alu instid0(VALU_DEP_3) | instskip(NEXT) | instid1(VALU_DEP_3)
	v_fma_f64 v[2:3], v[84:85], v[84:85], v[2:3]
	v_fma_f64 v[6:7], v[10:11], v[12:13], v[6:7]
	s_delay_alu instid0(VALU_DEP_3) | instskip(NEXT) | instid1(VALU_DEP_3)
	v_fma_f64 v[8:9], v[62:63], v[72:73], v[8:9]
	v_fma_f64 v[60:61], v[0:1], v[2:3], v[134:135]
	v_mul_f64_e32 v[2:3], v[252:253], v[252:253]
	s_delay_alu instid0(VALU_DEP_4) | instskip(SKIP_2) | instid1(VALU_DEP_4)
	v_fma_f64 v[4:5], v[0:1], v[6:7], v[116:117]
	v_mul_f64_e32 v[6:7], v[50:51], v[130:131]
	v_fma_f64 v[8:9], v[48:49], v[150:151], v[8:9]
	v_fma_f64 v[2:3], v[250:251], v[250:251], v[2:3]
	s_delay_alu instid0(VALU_DEP_3) | instskip(NEXT) | instid1(VALU_DEP_2)
	v_fma_f64 v[6:7], v[62:63], v[96:97], v[6:7]
	v_fma_f64 v[2:3], v[10:11], v[10:11], v[2:3]
	s_delay_alu instid0(VALU_DEP_2) | instskip(NEXT) | instid1(VALU_DEP_2)
	v_fma_f64 v[6:7], v[48:49], v[98:99], v[6:7]
	v_fma_f64 v[2:3], v[0:1], v[2:3], v[114:115]
	scratch_store_b128 off, v[2:5], off offset:1152 ; 16-byte Folded Spill
	s_wait_loadcnt 0x0
	v_fma_f64 v[2:3], v[0:1], v[6:7], v[24:25]
	v_fma_f64 v[4:5], v[0:1], v[8:9], v[26:27]
	v_mul_f64_e32 v[6:7], v[240:241], v[130:131]
	v_mul_f64_e32 v[8:9], v[240:241], v[14:15]
	scratch_store_b128 off, v[2:5], off offset:1752 ; 16-byte Folded Spill
	v_fma_f64 v[6:7], v[188:189], v[96:97], v[6:7]
	v_fma_f64 v[8:9], v[188:189], v[72:73], v[8:9]
	s_delay_alu instid0(VALU_DEP_2) | instskip(NEXT) | instid1(VALU_DEP_2)
	v_fma_f64 v[6:7], v[76:77], v[98:99], v[6:7]
	v_fma_f64 v[8:9], v[76:77], v[150:151], v[8:9]
	s_delay_alu instid0(VALU_DEP_2) | instskip(NEXT) | instid1(VALU_DEP_2)
	v_fma_f64 v[2:3], v[0:1], v[6:7], v[52:53]
	v_fma_f64 v[4:5], v[0:1], v[8:9], v[54:55]
	s_clause 0x1
	scratch_store_b128 off, v[2:5], off offset:1720
	scratch_store_b128 off, v[24:27], off offset:32
	s_clause 0x1
	scratch_load_b128 v[40:43], off, off offset:1240 th:TH_LOAD_LU
	scratch_load_b128 v[32:35], off, off offset:1480 th:TH_LOAD_LU
	v_dual_mov_b32 v8, v54 :: v_dual_mov_b32 v9, v55
	v_dual_mov_b32 v6, v26 :: v_dual_mov_b32 v7, v27
	;; [unrolled: 1-line block ×3, first 2 shown]
	s_wait_loadcnt 0x1
	v_fma_f64 v[2:3], v[0:1], v[28:29], v[40:41]
	v_fma_f64 v[4:5], v[0:1], v[30:31], v[42:43]
	v_mul_f64_e32 v[28:29], v[240:241], v[36:37]
	v_mul_f64_e32 v[30:31], v[240:241], v[126:127]
	scratch_store_b128 off, v[52:55], off offset:128
	v_dual_mov_b32 v88, v42 :: v_dual_mov_b32 v89, v43
	s_wait_loadcnt 0x0
	v_dual_mov_b32 v90, v34 :: v_dual_mov_b32 v91, v35
	scratch_store_b128 off, v[2:5], off offset:1224 ; 16-byte Folded Spill
	v_fma_f64 v[28:29], v[188:189], v[122:123], v[28:29]
	v_fma_f64 v[30:31], v[188:189], v[56:57], v[30:31]
	s_delay_alu instid0(VALU_DEP_2) | instskip(NEXT) | instid1(VALU_DEP_2)
	v_fma_f64 v[28:29], v[76:77], v[124:125], v[28:29]
	v_fma_f64 v[30:31], v[76:77], v[128:129], v[30:31]
	s_delay_alu instid0(VALU_DEP_2) | instskip(NEXT) | instid1(VALU_DEP_2)
	v_fma_f64 v[2:3], v[0:1], v[28:29], v[32:33]
	v_fma_f64 v[4:5], v[0:1], v[30:31], v[34:35]
	s_clause 0x1
	scratch_store_b128 off, v[2:5], off offset:1768
	scratch_store_b128 off, v[40:43], off offset:48
	v_dual_mov_b32 v42, v32 :: v_dual_mov_b32 v43, v33
	s_clause 0x1
	scratch_load_b128 v[44:47], off, off offset:1352 th:TH_LOAD_LU
	scratch_load_b128 v[212:215], off, off offset:1336 th:TH_LOAD_LU
	scratch_store_b128 off, v[32:35], off offset:144
	scratch_load_b128 v[32:35], off, off offset:1464 th:TH_LOAD_LU ; 16-byte Folded Reload
	v_mul_f64_e32 v[28:29], v[50:51], v[16:17]
	v_mul_f64_e32 v[30:31], v[50:51], v[210:211]
	s_clause 0x1
	scratch_load_b128 v[132:135], off, off offset:1400 th:TH_LOAD_LU
	scratch_load_b128 v[152:155], off, off offset:1384 th:TH_LOAD_LU
	scratch_store_b128 off, v[216:219], off offset:544
	s_clause 0x1
	scratch_load_b128 v[114:117], off, off offset:1288 th:TH_LOAD_LU
	scratch_load_b128 v[146:149], off, off offset:1304 th:TH_LOAD_LU
	scratch_store_b128 off, v[108:111], off offset:736
	v_fma_f64 v[28:29], v[62:63], v[66:67], v[28:29]
	v_fma_f64 v[30:31], v[62:63], v[38:39], v[30:31]
	s_delay_alu instid0(VALU_DEP_2) | instskip(NEXT) | instid1(VALU_DEP_2)
	v_fma_f64 v[28:29], v[48:49], v[64:65], v[28:29]
	v_fma_f64 v[30:31], v[48:49], v[112:113], v[30:31]
	s_wait_loadcnt 0x6
	scratch_store_b128 off, v[44:47], off offset:160
	v_dual_mov_b32 v86, v46 :: v_dual_mov_b32 v87, v47
	s_wait_loadcnt 0x4
	v_fma_f64 v[2:3], v[0:1], v[28:29], v[32:33]
	v_fma_f64 v[4:5], v[0:1], v[30:31], v[34:35]
	v_mul_f64_e32 v[28:29], v[240:241], v[16:17]
	v_mul_f64_e32 v[30:31], v[240:241], v[210:211]
	scratch_store_b128 off, v[32:35], off offset:64
	v_dual_mov_b32 v84, v34 :: v_dual_mov_b32 v85, v35
	s_wait_loadcnt 0x1
	scratch_store_b128 off, v[114:117], off offset:176
	v_dual_mov_b32 v54, v116 :: v_dual_mov_b32 v55, v117
	scratch_store_b128 off, v[212:215], off offset:224
	v_dual_mov_b32 v142, v214 :: v_dual_mov_b32 v143, v215
	;; [unrolled: 2-line block ×4, first 2 shown]
	s_wait_loadcnt 0x0
	s_clause 0x1
	scratch_store_b128 off, v[146:149], off offset:256
	scratch_store_b128 off, v[2:5], off offset:1240
	v_fma_f64 v[28:29], v[188:189], v[66:67], v[28:29]
	v_fma_f64 v[30:31], v[188:189], v[38:39], v[30:31]
	s_delay_alu instid0(VALU_DEP_2) | instskip(NEXT) | instid1(VALU_DEP_2)
	v_fma_f64 v[28:29], v[76:77], v[64:65], v[28:29]
	v_fma_f64 v[30:31], v[76:77], v[112:113], v[30:31]
	s_delay_alu instid0(VALU_DEP_2) | instskip(NEXT) | instid1(VALU_DEP_2)
	v_fma_f64 v[220:221], v[0:1], v[28:29], v[44:45]
	v_fma_f64 v[222:223], v[0:1], v[30:31], v[46:47]
	v_dual_mov_b32 v28, v32 :: v_dual_mov_b32 v29, v33
	v_dual_mov_b32 v30, v34 :: v_dual_mov_b32 v31, v35
	v_mul_f64_e32 v[32:33], v[50:51], v[252:253]
	v_mul_f64_e32 v[34:35], v[50:51], v[254:255]
	v_dual_mov_b32 v30, v44 :: v_dual_mov_b32 v31, v45
	v_mul_f64_e32 v[44:45], v[240:241], v[252:253]
	v_mul_f64_e32 v[46:47], v[240:241], v[254:255]
	v_fma_f64 v[32:33], v[62:63], v[250:251], v[32:33]
	v_fma_f64 v[34:35], v[62:63], v[190:191], v[34:35]
	v_mul_f64_e32 v[62:63], v[74:75], v[252:253]
	v_fma_f64 v[44:45], v[188:189], v[250:251], v[44:45]
	v_fma_f64 v[46:47], v[188:189], v[190:191], v[46:47]
	;; [unrolled: 1-line block ×4, first 2 shown]
	scratch_load_b128 v[48:51], off, off offset:1256 th:TH_LOAD_LU ; 16-byte Folded Reload
	v_fma_f64 v[62:63], v[68:69], v[250:251], v[62:63]
	v_fma_f64 v[44:45], v[76:77], v[10:11], v[44:45]
	;; [unrolled: 1-line block ×3, first 2 shown]
	s_delay_alu instid0(VALU_DEP_3) | instskip(NEXT) | instid1(VALU_DEP_3)
	v_fma_f64 v[62:63], v[70:71], v[10:11], v[62:63]
	v_fma_f64 v[200:201], v[0:1], v[44:45], v[114:115]
	s_delay_alu instid0(VALU_DEP_3)
	v_fma_f64 v[202:203], v[0:1], v[46:47], v[116:117]
	s_wait_loadcnt 0x0
	v_dual_mov_b32 v44, v48 :: v_dual_mov_b32 v45, v49
	v_dual_mov_b32 v46, v50 :: v_dual_mov_b32 v47, v51
	scratch_store_b128 off, v[48:51], off offset:80
	v_dual_mov_b32 v46, v114 :: v_dual_mov_b32 v47, v115
	scratch_load_b128 v[114:117], off, off offset:1416 th:TH_LOAD_LU ; 16-byte Folded Reload
	v_fma_f64 v[78:79], v[0:1], v[32:33], v[48:49]
	v_fma_f64 v[80:81], v[0:1], v[34:35], v[50:51]
	v_dual_mov_b32 v52, v50 :: v_dual_mov_b32 v53, v51
	v_mul_f64_e32 v[48:49], v[74:75], v[130:131]
	v_mul_f64_e32 v[50:51], v[74:75], v[14:15]
	s_delay_alu instid0(VALU_DEP_2) | instskip(NEXT) | instid1(VALU_DEP_2)
	v_fma_f64 v[48:49], v[68:69], v[96:97], v[48:49]
	v_fma_f64 v[50:51], v[68:69], v[72:73], v[50:51]
	s_delay_alu instid0(VALU_DEP_2) | instskip(NEXT) | instid1(VALU_DEP_2)
	v_fma_f64 v[48:49], v[70:71], v[98:99], v[48:49]
	v_fma_f64 v[50:51], v[70:71], v[150:151], v[50:51]
	;; [unrolled: 3-line block ×3, first 2 shown]
	v_mul_f64_e32 v[48:49], v[22:23], v[130:131]
	v_mul_f64_e32 v[50:51], v[22:23], v[14:15]
	s_delay_alu instid0(VALU_DEP_2) | instskip(NEXT) | instid1(VALU_DEP_2)
	v_fma_f64 v[48:49], v[20:21], v[96:97], v[48:49]
	v_fma_f64 v[50:51], v[20:21], v[72:73], v[50:51]
	s_delay_alu instid0(VALU_DEP_2) | instskip(NEXT) | instid1(VALU_DEP_2)
	v_fma_f64 v[48:49], v[18:19], v[98:99], v[48:49]
	v_fma_f64 v[50:51], v[18:19], v[150:151], v[50:51]
	s_wait_loadcnt 0x0
	s_delay_alu instid0(VALU_DEP_2) | instskip(NEXT) | instid1(VALU_DEP_2)
	v_fma_f64 v[224:225], v[0:1], v[48:49], v[114:115]
	v_fma_f64 v[226:227], v[0:1], v[50:51], v[116:117]
	scratch_store_b128 off, v[114:117], off offset:320
	v_dual_mov_b32 v144, v116 :: v_dual_mov_b32 v145, v117
	v_dual_mov_b32 v214, v114 :: v_dual_mov_b32 v215, v115
	scratch_load_b128 v[114:117], off, off offset:1320 th:TH_LOAD_LU ; 16-byte Folded Reload
	v_mul_f64_e32 v[48:49], v[74:75], v[36:37]
	v_mul_f64_e32 v[50:51], v[74:75], v[126:127]
	s_delay_alu instid0(VALU_DEP_2) | instskip(NEXT) | instid1(VALU_DEP_2)
	v_fma_f64 v[48:49], v[68:69], v[122:123], v[48:49]
	v_fma_f64 v[50:51], v[68:69], v[56:57], v[50:51]
	s_delay_alu instid0(VALU_DEP_2) | instskip(NEXT) | instid1(VALU_DEP_2)
	v_fma_f64 v[48:49], v[70:71], v[124:125], v[48:49]
	v_fma_f64 v[50:51], v[70:71], v[128:129], v[50:51]
	s_wait_loadcnt 0x0
	s_delay_alu instid0(VALU_DEP_2) | instskip(NEXT) | instid1(VALU_DEP_2)
	v_fma_f64 v[2:3], v[0:1], v[48:49], v[114:115]
	v_fma_f64 v[4:5], v[0:1], v[50:51], v[116:117]
	v_mul_f64_e32 v[48:49], v[22:23], v[36:37]
	v_mul_f64_e32 v[50:51], v[22:23], v[126:127]
	scratch_store_b128 off, v[114:117], off offset:240
	v_dual_mov_b32 v138, v116 :: v_dual_mov_b32 v139, v117
	v_dual_mov_b32 v116, v132 :: v_dual_mov_b32 v117, v133
	v_fma_f64 v[48:49], v[20:21], v[122:123], v[48:49]
	v_fma_f64 v[50:51], v[20:21], v[56:57], v[50:51]
	s_delay_alu instid0(VALU_DEP_2) | instskip(NEXT) | instid1(VALU_DEP_2)
	v_fma_f64 v[48:49], v[18:19], v[124:125], v[48:49]
	v_fma_f64 v[50:51], v[18:19], v[128:129], v[50:51]
	s_delay_alu instid0(VALU_DEP_2) | instskip(NEXT) | instid1(VALU_DEP_2)
	v_fma_f64 v[176:177], v[0:1], v[48:49], v[132:133]
	v_fma_f64 v[178:179], v[0:1], v[50:51], v[134:135]
	v_mul_f64_e32 v[48:49], v[74:75], v[16:17]
	v_mul_f64_e32 v[50:51], v[74:75], v[210:211]
	v_dual_mov_b32 v134, v148 :: v_dual_mov_b32 v135, v149
	v_mul_f64_e32 v[74:75], v[74:75], v[254:255]
	s_delay_alu instid0(VALU_DEP_4) | instskip(NEXT) | instid1(VALU_DEP_4)
	v_fma_f64 v[48:49], v[68:69], v[66:67], v[48:49]
	v_fma_f64 v[50:51], v[68:69], v[38:39], v[50:51]
	s_delay_alu instid0(VALU_DEP_3) | instskip(SKIP_1) | instid1(VALU_DEP_4)
	v_fma_f64 v[68:69], v[68:69], v[190:191], v[74:75]
	v_mul_f64_e32 v[74:75], v[130:131], v[210:211]
	v_fma_f64 v[48:49], v[70:71], v[64:65], v[48:49]
	s_delay_alu instid0(VALU_DEP_4) | instskip(NEXT) | instid1(VALU_DEP_4)
	v_fma_f64 v[50:51], v[70:71], v[112:113], v[50:51]
	v_fma_f64 v[68:69], v[70:71], v[12:13], v[68:69]
	s_delay_alu instid0(VALU_DEP_4) | instskip(NEXT) | instid1(VALU_DEP_4)
	v_fma_f64 v[74:75], v[96:97], v[38:39], v[74:75]
	v_fma_f64 v[228:229], v[0:1], v[48:49], v[146:147]
	s_delay_alu instid0(VALU_DEP_4) | instskip(SKIP_3) | instid1(VALU_DEP_3)
	v_fma_f64 v[230:231], v[0:1], v[50:51], v[148:149]
	v_mul_f64_e32 v[48:49], v[22:23], v[16:17]
	v_mul_f64_e32 v[50:51], v[22:23], v[210:211]
	v_fma_f64 v[74:75], v[98:99], v[112:113], v[74:75]
	v_fma_f64 v[48:49], v[20:21], v[66:67], v[48:49]
	s_delay_alu instid0(VALU_DEP_3) | instskip(NEXT) | instid1(VALU_DEP_2)
	v_fma_f64 v[50:51], v[20:21], v[38:39], v[50:51]
	v_fma_f64 v[48:49], v[18:19], v[64:65], v[48:49]
	s_delay_alu instid0(VALU_DEP_2) | instskip(NEXT) | instid1(VALU_DEP_2)
	v_fma_f64 v[50:51], v[18:19], v[112:113], v[50:51]
	v_fma_f64 v[172:173], v[0:1], v[48:49], v[152:153]
	s_delay_alu instid0(VALU_DEP_2)
	v_fma_f64 v[174:175], v[0:1], v[50:51], v[154:155]
	v_dual_mov_b32 v48, v146 :: v_dual_mov_b32 v49, v147
	v_dual_mov_b32 v50, v148 :: v_dual_mov_b32 v51, v149
	;; [unrolled: 1-line block ×3, first 2 shown]
	s_clause 0x1
	scratch_load_b128 v[152:155], off, off offset:1272 th:TH_LOAD_LU
	scratch_load_b128 v[146:149], off, off offset:1368 th:TH_LOAD_LU
	s_wait_loadcnt 0x1
	v_fma_f64 v[232:233], v[0:1], v[62:63], v[152:153]
	v_fma_f64 v[234:235], v[0:1], v[68:69], v[154:155]
	v_mul_f64_e32 v[62:63], v[22:23], v[252:253]
	v_mul_f64_e32 v[68:69], v[22:23], v[254:255]
	scratch_store_b128 off, v[152:155], off offset:272
	s_wait_loadcnt 0x0
	scratch_store_b128 off, v[146:149], off offset:368
	v_dual_mov_b32 v70, v148 :: v_dual_mov_b32 v71, v149
	v_fma_f64 v[62:63], v[20:21], v[250:251], v[62:63]
	v_fma_f64 v[68:69], v[20:21], v[190:191], v[68:69]
	s_delay_alu instid0(VALU_DEP_2) | instskip(NEXT) | instid1(VALU_DEP_2)
	v_fma_f64 v[62:63], v[18:19], v[10:11], v[62:63]
	v_fma_f64 v[68:69], v[18:19], v[12:13], v[68:69]
	s_delay_alu instid0(VALU_DEP_2) | instskip(NEXT) | instid1(VALU_DEP_2)
	v_fma_f64 v[168:169], v[0:1], v[62:63], v[146:147]
	v_fma_f64 v[170:171], v[0:1], v[68:69], v[148:149]
	v_dual_mov_b32 v68, v154 :: v_dual_mov_b32 v69, v155
	v_dual_mov_b32 v154, v146 :: v_dual_mov_b32 v155, v147
	scratch_load_b128 v[146:149], off, off offset:1448 th:TH_LOAD_LU ; 16-byte Folded Reload
	v_mul_f64_e32 v[62:63], v[130:131], v[16:17]
	s_delay_alu instid0(VALU_DEP_1) | instskip(NEXT) | instid1(VALU_DEP_1)
	v_fma_f64 v[62:63], v[96:97], v[66:67], v[62:63]
	v_fma_f64 v[62:63], v[98:99], v[64:65], v[62:63]
	s_wait_loadcnt 0x0
	s_delay_alu instid0(VALU_DEP_1)
	v_fma_f64 v[32:33], v[0:1], v[62:63], v[146:147]
	v_fma_f64 v[34:35], v[0:1], v[74:75], v[148:149]
	v_mul_f64_e32 v[62:63], v[14:15], v[16:17]
	v_mul_f64_e32 v[74:75], v[14:15], v[210:211]
	v_dual_mov_b32 v118, v146 :: v_dual_mov_b32 v119, v147
	v_dual_mov_b32 v120, v148 :: v_dual_mov_b32 v121, v149
	;; [unrolled: 1-line block ×4, first 2 shown]
	v_fma_f64 v[62:63], v[72:73], v[66:67], v[62:63]
	v_fma_f64 v[74:75], v[72:73], v[38:39], v[74:75]
	s_delay_alu instid0(VALU_DEP_2) | instskip(NEXT) | instid1(VALU_DEP_2)
	v_fma_f64 v[62:63], v[150:151], v[64:65], v[62:63]
	v_fma_f64 v[74:75], v[150:151], v[112:113], v[74:75]
	s_delay_alu instid0(VALU_DEP_2) | instskip(NEXT) | instid1(VALU_DEP_2)
	v_fma_f64 v[196:197], v[0:1], v[62:63], v[216:217]
	v_fma_f64 v[198:199], v[0:1], v[74:75], v[218:219]
	v_mul_f64_e32 v[62:63], v[130:131], v[252:253]
	v_mul_f64_e32 v[74:75], v[130:131], v[254:255]
	scratch_load_b128 v[130:133], off, off offset:1432 th:TH_LOAD_LU ; 16-byte Folded Reload
	scratch_store_b128 off, v[146:149], off offset:448
	v_fma_f64 v[62:63], v[96:97], v[250:251], v[62:63]
	v_fma_f64 v[74:75], v[96:97], v[190:191], v[74:75]
	s_delay_alu instid0(VALU_DEP_2) | instskip(NEXT) | instid1(VALU_DEP_2)
	v_fma_f64 v[62:63], v[98:99], v[10:11], v[62:63]
	v_fma_f64 v[74:75], v[98:99], v[12:13], v[74:75]
	v_dual_mov_b32 v96, v206 :: v_dual_mov_b32 v97, v207
	v_dual_mov_b32 v98, v208 :: v_dual_mov_b32 v99, v209
	s_delay_alu instid0(VALU_DEP_1)
	v_dual_mov_b32 v148, v98 :: v_dual_mov_b32 v149, v99
	scratch_store_b128 off, v[96:99], off offset:560
	s_wait_loadcnt 0x0
	v_fma_f64 v[216:217], v[0:1], v[62:63], v[130:131]
	v_fma_f64 v[218:219], v[0:1], v[74:75], v[132:133]
	v_mul_f64_e32 v[62:63], v[14:15], v[252:253]
	v_mul_f64_e32 v[74:75], v[14:15], v[254:255]
	scratch_store_b128 off, v[130:133], off offset:464
	v_dual_mov_b32 v146, v132 :: v_dual_mov_b32 v147, v133
	v_dual_mov_b32 v132, v96 :: v_dual_mov_b32 v133, v97
	v_fma_f64 v[62:63], v[72:73], v[250:251], v[62:63]
	v_fma_f64 v[74:75], v[72:73], v[190:191], v[74:75]
	s_delay_alu instid0(VALU_DEP_2) | instskip(NEXT) | instid1(VALU_DEP_2)
	v_fma_f64 v[62:63], v[150:151], v[10:11], v[62:63]
	v_fma_f64 v[74:75], v[150:151], v[12:13], v[74:75]
	s_delay_alu instid0(VALU_DEP_2) | instskip(NEXT) | instid1(VALU_DEP_2)
	v_fma_f64 v[206:207], v[0:1], v[62:63], v[96:97]
	v_fma_f64 v[208:209], v[0:1], v[74:75], v[98:99]
	scratch_load_b128 v[96:99], off, off offset:1512 th:TH_LOAD_LU ; 16-byte Folded Reload
	v_mul_f64_e32 v[62:63], v[36:37], v[16:17]
	v_mul_f64_e32 v[16:17], v[126:127], v[16:17]
	s_delay_alu instid0(VALU_DEP_2) | instskip(NEXT) | instid1(VALU_DEP_2)
	v_fma_f64 v[62:63], v[122:123], v[66:67], v[62:63]
	v_fma_f64 v[16:17], v[56:57], v[66:67], v[16:17]
	v_mul_f64_e32 v[66:67], v[126:127], v[252:253]
	s_delay_alu instid0(VALU_DEP_3) | instskip(NEXT) | instid1(VALU_DEP_3)
	v_fma_f64 v[62:63], v[124:125], v[64:65], v[62:63]
	v_fma_f64 v[16:17], v[128:129], v[64:65], v[16:17]
	v_mul_f64_e32 v[64:65], v[36:37], v[210:211]
	s_delay_alu instid0(VALU_DEP_4) | instskip(NEXT) | instid1(VALU_DEP_3)
	v_fma_f64 v[66:67], v[56:57], v[250:251], v[66:67]
	v_fma_f64 v[180:181], v[0:1], v[16:17], v[108:109]
	v_mul_f64_e32 v[16:17], v[36:37], v[252:253]
	v_mul_f64_e32 v[36:37], v[36:37], v[254:255]
	v_fma_f64 v[64:65], v[122:123], v[38:39], v[64:65]
	s_delay_alu instid0(VALU_DEP_3) | instskip(NEXT) | instid1(VALU_DEP_3)
	v_fma_f64 v[16:17], v[122:123], v[250:251], v[16:17]
	v_fma_f64 v[36:37], v[122:123], v[190:191], v[36:37]
	s_delay_alu instid0(VALU_DEP_3) | instskip(NEXT) | instid1(VALU_DEP_3)
	v_fma_f64 v[64:65], v[124:125], v[112:113], v[64:65]
	v_fma_f64 v[16:17], v[124:125], v[10:11], v[16:17]
	s_delay_alu instid0(VALU_DEP_3)
	v_fma_f64 v[36:37], v[124:125], v[12:13], v[36:37]
	v_fma_f64 v[10:11], v[128:129], v[10:11], v[66:67]
	s_wait_loadcnt 0x0
	scratch_store_b128 off, v[96:99], off offset:640
	s_clause 0x1
	scratch_load_b64 v[66:67], off, off offset:1896
	scratch_load_b128 v[122:125], off, off offset:1496 th:TH_LOAD_LU
	v_fma_f64 v[184:185], v[0:1], v[62:63], v[96:97]
	v_mul_f64_e32 v[62:63], v[126:127], v[210:211]
	v_fma_f64 v[186:187], v[0:1], v[64:65], v[98:99]
	v_dual_mov_b32 v64, v110 :: v_dual_mov_b32 v65, v111
	scratch_store_b128 off, v[156:159], off offset:288
	scratch_load_b128 v[156:159], off, off offset:1704 ; 16-byte Folded Reload
	v_fma_f64 v[62:63], v[56:57], v[38:39], v[62:63]
	s_delay_alu instid0(VALU_DEP_1) | instskip(NEXT) | instid1(VALU_DEP_1)
	v_fma_f64 v[62:63], v[128:129], v[112:113], v[62:63]
	v_fma_f64 v[182:183], v[0:1], v[62:63], v[110:111]
	v_dual_mov_b32 v62, v98 :: v_dual_mov_b32 v63, v99
	v_dual_mov_b32 v98, v108 :: v_dual_mov_b32 v99, v109
	;; [unrolled: 1-line block ×4, first 2 shown]
	s_delay_alu instid0(VALU_DEP_2) | instskip(SKIP_4) | instid1(VALU_DEP_2)
	v_dual_mov_b32 v253, v111 :: v_dual_mov_b32 v252, v110
	scratch_store_b128 off, v[108:111], off offset:752
	v_fma_f64 v[92:93], v[0:1], v[10:11], v[108:109]
	v_mul_f64_e32 v[10:11], v[14:15], v[14:15]
	v_mul_f64_e32 v[14:15], v[126:127], v[126:127]
	v_fma_f64 v[10:11], v[72:73], v[72:73], v[10:11]
	s_delay_alu instid0(VALU_DEP_2) | instskip(NEXT) | instid1(VALU_DEP_2)
	v_fma_f64 v[14:15], v[56:57], v[56:57], v[14:15]
	v_fma_f64 v[10:11], v[150:151], v[150:151], v[10:11]
	s_delay_alu instid0(VALU_DEP_2)
	v_fma_f64 v[14:15], v[128:129], v[128:129], v[14:15]
	s_wait_loadcnt 0x1
	v_fma_f64 v[194:195], v[0:1], v[36:37], v[124:125]
	scratch_load_b64 v[36:37], off, off offset:2000 ; 8-byte Folded Reload
	s_clause 0x4
	scratch_store_b128 off, v[122:125], off offset:656
	scratch_store_b128 off, v[6:9], off offset:480
	;; [unrolled: 1-line block ×5, first 2 shown]
	v_mul_f64_e32 v[8:9], v[22:23], v[22:23]
	v_fma_f64 v[192:193], v[0:1], v[16:17], v[122:123]
	v_mul_f64_e32 v[16:17], v[126:127], v[254:255]
	v_mul_f64_e32 v[6:7], v[240:241], v[240:241]
	v_dual_mov_b32 v250, v124 :: v_dual_mov_b32 v251, v125
	scratch_load_b128 v[140:143], off, off offset:1200 ; 16-byte Folded Reload
	s_clause 0x1
	scratch_store_b128 off, v[84:87], off offset:864
	scratch_store_b128 off, v[134:137], off offset:880
	scratch_load_b128 v[136:139], off, off offset:1736 ; 16-byte Folded Reload
	s_clause 0x1
	scratch_store_b128 off, v[52:55], off offset:1056
	scratch_store_b128 off, v[68:71], off offset:1072
	s_clause 0x1
	scratch_load_b64 v[70:71], off, off offset:1952
	scratch_load_b64 v[68:69], off, off offset:1904
	s_clause 0x1
	scratch_store_b128 off, v[160:163], off offset:704
	scratch_store_b128 off, v[164:167], off offset:896
	v_dual_mov_b32 v167, v35 :: v_dual_mov_b32 v166, v34
	scratch_store_b128 off, v[62:65], off offset:912
	v_dual_mov_b32 v165, v33 :: v_dual_mov_b32 v164, v32
	s_clause 0x2
	scratch_load_b128 v[32:35], off, off offset:1672
	scratch_load_b64 v[64:65], off, off offset:1888
	scratch_load_b64 v[62:63], off, off offset:1880
	s_clause 0x1
	scratch_store_b128 off, v[146:149], off offset:1088
	scratch_store_b128 off, v[250:253], off offset:1104
	v_dual_mov_b32 v253, v5 :: v_dual_mov_b32 v252, v4
	scratch_store_b128 off, v[104:107], off offset:1120
	s_clause 0x1
	scratch_load_b128 v[144:147], off, off offset:1184
	scratch_load_b64 v[74:75], off, off offset:1864
	v_dual_mov_b32 v251, v3 :: v_dual_mov_b32 v250, v2
	s_clause 0x2
	scratch_load_b64 v[22:23], off, off offset:1936
	scratch_load_b64 v[72:73], off, off offset:1968
	;; [unrolled: 1-line block ×3, first 2 shown]
	v_dual_mov_b32 v124, v108 :: v_dual_mov_b32 v125, v109
	v_fma_f64 v[8:9], v[20:21], v[20:21], v[8:9]
	v_mul_f64_e32 v[20:21], v[254:255], v[254:255]
	v_fma_f64 v[16:17], v[56:57], v[190:191], v[16:17]
	v_fma_f64 v[6:7], v[188:189], v[188:189], v[6:7]
	s_delay_alu instid0(VALU_DEP_4) | instskip(NEXT) | instid1(VALU_DEP_4)
	v_fma_f64 v[8:9], v[18:19], v[18:19], v[8:9]
	v_fma_f64 v[20:21], v[190:191], v[190:191], v[20:21]
	s_delay_alu instid0(VALU_DEP_4)
	v_fma_f64 v[16:17], v[128:129], v[12:13], v[16:17]
	s_clause 0x3
	scratch_load_b128 v[188:191], off, off offset:1752
	scratch_load_b128 v[160:163], off, off offset:1640
	scratch_load_b64 v[18:19], off, off offset:1928
	scratch_load_b128 v[126:129], off, off offset:1576
	v_fma_f64 v[6:7], v[76:77], v[76:77], v[6:7]
	v_fma_f64 v[86:87], v[0:1], v[8:9], v[244:245]
	v_fma_f64 v[12:13], v[12:13], v[12:13], v[20:21]
	s_clause 0x2
	scratch_load_b64 v[20:21], off, off offset:1920
	scratch_load_b128 v[52:55], off, off offset:1544 th:TH_LOAD_LU
	scratch_load_b128 v[2:5], off, off offset:1560 th:TH_LOAD_LU
	v_fma_f64 v[94:95], v[0:1], v[16:17], v[110:111]
	v_mul_f64_e32 v[16:17], v[210:211], v[210:211]
	s_clause 0x2
	scratch_store_b128 off, v[242:245], off offset:304
	scratch_store_b128 off, v[246:249], off offset:720
	;; [unrolled: 1-line block ×3, first 2 shown]
	v_fma_f64 v[134:135], v[0:1], v[12:13], v[60:61]
	scratch_load_b64 v[12:13], off, off offset:1856 ; 8-byte Folded Reload
	v_fma_f64 v[16:17], v[38:39], v[38:39], v[16:17]
	s_delay_alu instid0(VALU_DEP_1)
	v_fma_f64 v[16:17], v[112:113], v[112:113], v[16:17]
	s_wait_loadcnt 0xf
	v_dual_mov_b32 v84, v34 :: v_dual_mov_b32 v85, v35
	s_wait_loadcnt 0x4
	v_dual_mov_b32 v110, v128 :: v_dual_mov_b32 v111, v129
	s_wait_loadcnt 0x2
	scratch_store_b128 off, v[52:55], off offset:96
	s_wait_loadcnt 0x1
	scratch_store_b128 off, v[2:5], off offset:512
	v_fma_f64 v[112:113], v[0:1], v[10:11], v[4:5]
	s_clause 0x1
	scratch_load_b64 v[10:11], off, off offset:1848
	scratch_load_b128 v[2:5], off, off offset:1592 th:TH_LOAD_LU
	v_fma_f64 v[150:151], v[0:1], v[6:7], v[54:55]
	v_fma_f64 v[6:7], v[0:1], v[14:15], v[248:249]
	v_dual_mov_b32 v14, v238 :: v_dual_mov_b32 v15, v239
	v_dual_mov_b32 v52, v220 :: v_dual_mov_b32 v53, v221
	v_dual_mov_b32 v54, v222 :: v_dual_mov_b32 v55, v223
	s_wait_loadcnt 0x0
	scratch_store_b128 off, v[2:5], off offset:928
	v_fma_f64 v[90:91], v[0:1], v[16:17], v[4:5]
	s_clause 0x1
	scratch_load_b128 v[58:61], off, off offset:1768
	scratch_load_b128 v[0:3], off, off offset:1624 th:TH_LOAD_LU
	v_dual_mov_b32 v16, v226 :: v_dual_mov_b32 v17, v227
	v_dual_mov_b32 v4, v146 :: v_dual_mov_b32 v5, v147
	s_wait_loadcnt 0x0
	s_clause 0x1
	scratch_store_b128 off, v[0:3], off offset:192
	scratch_store_b128 off, v[24:27], off offset:384
	s_clause 0x1
	scratch_load_b64 v[26:27], off, off offset:1976
	scratch_load_b64 v[24:25], off, off offset:1944
	s_clause 0x1
	scratch_store_b128 off, v[212:215], off offset:400
	scratch_store_b128 off, v[40:43], off offset:576
	s_clause 0x2
	scratch_load_b128 v[212:215], off, off offset:1224
	scratch_load_b64 v[42:43], off, off offset:2008
	scratch_load_b64 v[40:41], off, off offset:1960
	s_clause 0x1
	scratch_store_b128 off, v[114:117], off offset:592
	scratch_store_b128 off, v[28:31], off offset:768
	v_dual_mov_b32 v117, v81 :: v_dual_mov_b32 v116, v80
	v_dual_mov_b32 v115, v79 :: v_dual_mov_b32 v114, v78
	s_clause 0x2
	scratch_load_b128 v[76:79], off, off offset:1168
	scratch_load_b64 v[30:31], off, off offset:1992
	scratch_load_b64 v[28:29], off, off offset:1984
	s_clause 0x1
	scratch_store_b128 off, v[48:51], off offset:784
	scratch_store_b128 off, v[44:47], off offset:960
	s_clause 0x2
	scratch_load_b64 v[48:49], off, off offset:1216
	scratch_load_b64 v[46:47], off, off offset:2024
	;; [unrolled: 1-line block ×3, first 2 shown]
	scratch_store_b128 off, v[152:155], off offset:976
	s_clause 0x1
	scratch_load_b128 v[152:155], off, off offset:1656
	scratch_load_b128 v[0:3], off, off offset:1688 th:TH_LOAD_LU
	s_wait_loadcnt 0x0
	s_clause 0x1
	scratch_store_b128 off, v[0:3], off offset:608
	scratch_store_b128 off, v[118:121], off offset:800
	v_dual_mov_b32 v119, v83 :: v_dual_mov_b32 v118, v82
	scratch_load_b128 v[80:83], off, off offset:1608 ; 16-byte Folded Reload
	scratch_store_b128 off, v[96:99], off offset:816
	scratch_load_b128 v[96:99], off, off offset:1720 ; 16-byte Folded Reload
	s_clause 0x1
	scratch_store_b128 off, v[130:133], off offset:992
	scratch_store_b128 off, v[122:125], off offset:1008
	scratch_load_b128 v[120:123], off, off offset:1240 ; 16-byte Folded Reload
	v_dual_mov_b32 v0, v162 :: v_dual_mov_b32 v1, v163
	v_dual_mov_b32 v88, v78 :: v_dual_mov_b32 v89, v79
	s_wait_loadcnt 0x2
	v_dual_mov_b32 v2, v82 :: v_dual_mov_b32 v3, v83
	scratch_store_b128 off, v[100:103], off offset:1024
	scratch_load_b128 v[102:105], off, off offset:1528 ; 16-byte Folded Reload
	scratch_store_b128 off, v[0:3], off offset:288
	v_dual_mov_b32 v0, v190 :: v_dual_mov_b32 v1, v191
	s_wait_loadcnt 0x2
	v_dual_mov_b32 v2, v98 :: v_dual_mov_b32 v3, v99
	s_clause 0x1
	scratch_store_b128 off, v[0:3], off offset:480
	scratch_store_b128 off, v[14:17], off offset:496
	v_dual_mov_b32 v0, v214 :: v_dual_mov_b32 v1, v215
	v_dual_mov_b32 v2, v60 :: v_dual_mov_b32 v3, v61
	;; [unrolled: 1-line block ×4, first 2 shown]
	s_clause 0x1
	scratch_store_b128 off, v[0:3], off offset:672
	scratch_store_b128 off, v[14:17], off offset:688
	s_wait_loadcnt 0x1
	v_dual_mov_b32 v0, v122 :: v_dual_mov_b32 v1, v123
	v_dual_mov_b32 v2, v54 :: v_dual_mov_b32 v3, v55
	;; [unrolled: 1-line block ×4, first 2 shown]
	s_clause 0x1
	scratch_store_b128 off, v[0:3], off offset:864
	scratch_store_b128 off, v[14:17], off offset:880
	v_dual_mov_b32 v0, v116 :: v_dual_mov_b32 v1, v117
	v_dual_mov_b32 v2, v202 :: v_dual_mov_b32 v3, v203
	;; [unrolled: 1-line block ×4, first 2 shown]
	s_clause 0x1
	scratch_store_b128 off, v[0:3], off offset:1056
	scratch_store_b128 off, v[14:17], off offset:1072
	v_dual_mov_b32 v0, v158 :: v_dual_mov_b32 v1, v159
	v_dual_mov_b32 v2, v154 :: v_dual_mov_b32 v3, v155
	v_dual_mov_b32 v14, v186 :: v_dual_mov_b32 v15, v187
	v_dual_mov_b32 v16, v182 :: v_dual_mov_b32 v17, v183
	scratch_store_b128 off, v[0:3], off offset:704
	v_dual_mov_b32 v0, v166 :: v_dual_mov_b32 v1, v167
	v_dual_mov_b32 v2, v198 :: v_dual_mov_b32 v3, v199
	s_clause 0x1
	scratch_store_b128 off, v[0:3], off offset:896
	scratch_store_b128 off, v[14:17], off offset:912
	v_dual_mov_b32 v0, v218 :: v_dual_mov_b32 v1, v219
	v_dual_mov_b32 v2, v208 :: v_dual_mov_b32 v3, v209
	;; [unrolled: 1-line block ×4, first 2 shown]
	s_clause 0x1
	scratch_store_b128 off, v[0:3], off offset:1088
	scratch_store_b128 off, v[14:17], off offset:1104
	v_dual_mov_b32 v0, v142 :: v_dual_mov_b32 v1, v143
	v_dual_mov_b32 v2, v138 :: v_dual_mov_b32 v3, v139
	;; [unrolled: 1-line block ×4, first 2 shown]
	scratch_store_b128 off, v[0:3], off offset:1120
	v_dual_mov_b32 v0, v160 :: v_dual_mov_b32 v1, v161
	v_dual_mov_b32 v2, v162 :: v_dual_mov_b32 v3, v163
	;; [unrolled: 1-line block ×4, first 2 shown]
	scratch_load_b128 v[220:223], off, off offset:1152 ; 16-byte Folded Reload
	scratch_store_b128 off, v[0:3], off offset:192
	v_dual_mov_b32 v0, v188 :: v_dual_mov_b32 v1, v189
	v_dual_mov_b32 v2, v190 :: v_dual_mov_b32 v3, v191
	v_dual_mov_b32 v2, v96 :: v_dual_mov_b32 v3, v97
	s_clause 0x1
	scratch_store_b128 off, v[0:3], off offset:384
	scratch_store_b128 off, v[14:17], off offset:400
	v_dual_mov_b32 v0, v212 :: v_dual_mov_b32 v1, v213
	v_dual_mov_b32 v2, v214 :: v_dual_mov_b32 v3, v215
	v_dual_mov_b32 v14, v250 :: v_dual_mov_b32 v15, v251
	v_dual_mov_b32 v2, v58 :: v_dual_mov_b32 v3, v59
	v_dual_mov_b32 v16, v252 :: v_dual_mov_b32 v17, v253
	v_dual_mov_b32 v16, v176 :: v_dual_mov_b32 v17, v177
	s_clause 0x1
	scratch_store_b128 off, v[0:3], off offset:576
	scratch_store_b128 off, v[14:17], off offset:592
	v_dual_mov_b32 v0, v120 :: v_dual_mov_b32 v1, v121
	v_dual_mov_b32 v2, v122 :: v_dual_mov_b32 v3, v123
	v_dual_mov_b32 v14, v228 :: v_dual_mov_b32 v15, v229
	;; [unrolled: 9-line block ×4, first 2 shown]
	v_dual_mov_b32 v14, v184 :: v_dual_mov_b32 v15, v185
	v_dual_mov_b32 v16, v186 :: v_dual_mov_b32 v17, v187
	scratch_store_b128 off, v[0:3], off offset:608
	v_dual_mov_b32 v0, v164 :: v_dual_mov_b32 v1, v165
	v_dual_mov_b32 v2, v166 :: v_dual_mov_b32 v3, v167
	;; [unrolled: 1-line block ×4, first 2 shown]
	s_clause 0x1
	scratch_store_b128 off, v[0:3], off offset:800
	scratch_store_b128 off, v[14:17], off offset:816
	v_dual_mov_b32 v0, v216 :: v_dual_mov_b32 v1, v217
	v_dual_mov_b32 v2, v218 :: v_dual_mov_b32 v3, v219
	;; [unrolled: 1-line block ×6, first 2 shown]
	s_clause 0x1
	scratch_store_b128 off, v[0:3], off offset:992
	scratch_store_b128 off, v[14:17], off offset:1008
	scratch_load_b64 v[14:15], off, off offset:1912 ; 8-byte Folded Reload
	v_dual_mov_b32 v0, v140 :: v_dual_mov_b32 v1, v141
	v_dual_mov_b32 v2, v142 :: v_dual_mov_b32 v3, v143
	;; [unrolled: 1-line block ×3, first 2 shown]
	scratch_store_b128 off, v[0:3], off offset:1024
	v_cndmask_b32_e64 v0, 0, 1, s14
	s_mov_b32 s14, 0
	s_wait_loadcnt 0x2
	s_clause 0x5
	scratch_store_b128 off, v[102:105], off
	scratch_store_b128 off, v[160:163], off offset:16
	scratch_store_b128 off, v[188:191], off offset:32
	scratch_store_b128 off, v[212:215], off offset:48
	scratch_store_b128 off, v[120:123], off offset:64
	scratch_store_b128 off, v[114:117], off offset:80
	v_cmp_ne_u32_e32 vcc_lo, 1, v0
	v_dual_mov_b32 v148, v104 :: v_dual_mov_b32 v149, v105
	s_clause 0x17
	scratch_store_b128 off, v[96:99], off offset:128
	scratch_store_b128 off, v[58:61], off offset:144
	scratch_store_b128 off, v[52:55], off offset:160
	scratch_store_b128 off, v[200:203], off offset:176
	scratch_store_b128 off, v[236:239], off offset:224
	scratch_store_b128 off, v[250:253], off offset:240
	scratch_store_b128 off, v[228:231], off offset:256
	scratch_store_b128 off, v[232:235], off offset:272
	scratch_store_b128 off, v[224:227], off offset:320
	scratch_store_b128 off, v[176:179], off offset:336
	scratch_store_b128 off, v[172:175], off offset:352
	scratch_store_b128 off, v[168:171], off offset:368
	scratch_store_b128 off, v[126:129], off offset:416
	scratch_store_b128 off, v[156:159], off offset:432
	scratch_store_b128 off, v[164:167], off offset:448
	scratch_store_b128 off, v[216:219], off offset:464
	scratch_store_b128 off, v[196:199], off offset:544
	scratch_store_b128 off, v[206:209], off offset:560
	scratch_store_b128 off, v[184:187], off offset:640
	scratch_store_b128 off, v[192:195], off offset:656
	scratch_store_b128 off, v[180:183], off offset:736
	scratch_store_b128 off, v[92:95], off offset:752
	scratch_store_b128 off, v[76:79], off offset:832
	scratch_store_b128 off, v[140:143], off offset:848
	s_wait_loadcnt 0x1
	v_dual_mov_b32 v132, v222 :: v_dual_mov_b32 v133, v223
	s_clause 0xb
	scratch_store_b128 off, v[152:155], off offset:528
	scratch_store_b128 off, v[136:139], off offset:944
	;; [unrolled: 1-line block ×12, first 2 shown]
	s_cbranch_vccz .LBB2_5
; %bb.6:                                ;   in Loop: Header=BB2_4 Depth=2
	s_and_b32 vcc_lo, exec_lo, s13
	s_mov_b32 s10, 0
	s_wait_alu 0xfffe
	s_cbranch_vccnz .LBB2_2
; %bb.7:                                ;   in Loop: Header=BB2_4 Depth=2
	s_mov_b64 s[8:9], s[4:5]
	s_branch .LBB2_4
.LBB2_8:
	v_mov_b32_e32 v0, 0
	v_mov_b32_e32 v1, 0
	s_mov_b32 s0, 0
.LBB2_9:                                ; =>This Inner Loop Header: Depth=1
	s_clause 0x2
	scratch_load_b128 v[2:5], off, s0
	scratch_load_b128 v[6:9], off, s0 offset:96
	scratch_load_b128 v[10:13], off, s0 offset:192
	s_wait_loadcnt 0x3
	s_clause 0xa
	scratch_load_b128 v[14:17], off, s0 offset:16
	scratch_load_b128 v[18:21], off, s0 offset:112
	;; [unrolled: 1-line block ×11, first 2 shown]
	s_wait_loadcnt 0xd
	v_add_f64_e32 v[2:3], 0, v[2:3]
	s_wait_loadcnt 0xc
	v_add_f64_e32 v[6:7], 0, v[6:7]
	;; [unrolled: 2-line block ×3, first 2 shown]
	s_delay_alu instid0(VALU_DEP_3)
	v_add_f64_e32 v[62:63], v[2:3], v[4:5]
	s_clause 0x1
	scratch_load_b128 v[2:5], off, s0 offset:256
	scratch_load_b128 v[58:61], off, s0 offset:80
	v_add_f64_e32 v[64:65], v[6:7], v[8:9]
	scratch_load_b128 v[6:9], off, s0 offset:176
	s_wait_loadcnt 0xd
	v_add_f64_e32 v[14:15], v[62:63], v[14:15]
	v_add_f64_e32 v[62:63], v[10:11], v[12:13]
	s_wait_loadcnt 0xc
	v_add_f64_e32 v[18:19], v[64:65], v[18:19]
	scratch_load_b128 v[10:13], off, s0 offset:272
	s_addk_co_i32 s0, 0x120
	s_delay_alu instid0(SALU_CYCLE_1)
	s_cmp_lg_u32 s0, 0x480
	v_add_f64_e32 v[14:15], v[14:15], v[16:17]
	s_wait_loadcnt 0xc
	v_add_f64_e32 v[16:17], v[62:63], v[22:23]
	v_add_f64_e32 v[18:19], v[18:19], v[20:21]
	s_wait_loadcnt 0xb
	s_delay_alu instid0(VALU_DEP_3) | instskip(NEXT) | instid1(VALU_DEP_3)
	v_add_f64_e32 v[14:15], v[14:15], v[26:27]
	v_add_f64_e32 v[16:17], v[16:17], v[24:25]
	s_wait_loadcnt 0xa
	s_delay_alu instid0(VALU_DEP_3) | instskip(NEXT) | instid1(VALU_DEP_3)
	v_add_f64_e32 v[18:19], v[18:19], v[30:31]
	v_add_f64_e32 v[14:15], v[14:15], v[28:29]
	s_wait_loadcnt 0x9
	s_delay_alu instid0(VALU_DEP_3) | instskip(NEXT) | instid1(VALU_DEP_3)
	v_add_f64_e32 v[16:17], v[16:17], v[34:35]
	v_add_f64_e32 v[18:19], v[18:19], v[32:33]
	s_wait_loadcnt 0x8
	s_delay_alu instid0(VALU_DEP_3) | instskip(NEXT) | instid1(VALU_DEP_3)
	v_add_f64_e32 v[14:15], v[14:15], v[38:39]
	v_add_f64_e32 v[16:17], v[16:17], v[36:37]
	s_wait_loadcnt 0x7
	s_delay_alu instid0(VALU_DEP_3) | instskip(NEXT) | instid1(VALU_DEP_3)
	v_add_f64_e32 v[18:19], v[18:19], v[42:43]
	v_add_f64_e32 v[14:15], v[14:15], v[40:41]
	s_wait_loadcnt 0x6
	s_delay_alu instid0(VALU_DEP_3) | instskip(NEXT) | instid1(VALU_DEP_3)
	v_add_f64_e32 v[16:17], v[16:17], v[46:47]
	v_add_f64_e32 v[18:19], v[18:19], v[44:45]
	s_wait_loadcnt 0x5
	s_delay_alu instid0(VALU_DEP_3) | instskip(NEXT) | instid1(VALU_DEP_3)
	v_add_f64_e32 v[14:15], v[14:15], v[50:51]
	v_add_f64_e32 v[16:17], v[16:17], v[48:49]
	s_wait_loadcnt 0x4
	s_delay_alu instid0(VALU_DEP_3) | instskip(NEXT) | instid1(VALU_DEP_3)
	v_add_f64_e32 v[18:19], v[18:19], v[54:55]
	v_add_f64_e32 v[14:15], v[14:15], v[52:53]
	s_wait_loadcnt 0x3
	s_delay_alu instid0(VALU_DEP_3) | instskip(NEXT) | instid1(VALU_DEP_3)
	v_add_f64_e32 v[2:3], v[16:17], v[2:3]
	v_add_f64_e32 v[16:17], v[18:19], v[56:57]
	s_wait_loadcnt 0x2
	s_delay_alu instid0(VALU_DEP_3) | instskip(NEXT) | instid1(VALU_DEP_3)
	v_add_f64_e32 v[14:15], v[14:15], v[58:59]
	v_add_f64_e32 v[2:3], v[2:3], v[4:5]
	s_wait_loadcnt 0x1
	s_delay_alu instid0(VALU_DEP_3) | instskip(NEXT) | instid1(VALU_DEP_3)
	v_add_f64_e32 v[4:5], v[16:17], v[6:7]
	v_add_f64_e32 v[6:7], v[14:15], v[60:61]
	s_wait_loadcnt 0x0
	s_delay_alu instid0(VALU_DEP_3) | instskip(NEXT) | instid1(VALU_DEP_3)
	v_add_f64_e32 v[2:3], v[2:3], v[10:11]
	v_add_f64_e32 v[4:5], v[4:5], v[8:9]
	s_delay_alu instid0(VALU_DEP_3) | instskip(NEXT) | instid1(VALU_DEP_3)
	v_add_f64_e32 v[0:1], v[0:1], v[6:7]
	v_add_f64_e32 v[2:3], v[2:3], v[12:13]
	s_delay_alu instid0(VALU_DEP_2) | instskip(NEXT) | instid1(VALU_DEP_1)
	v_add_f64_e32 v[0:1], v[0:1], v[4:5]
	v_add_f64_e32 v[0:1], v[0:1], v[2:3]
	s_cbranch_scc1 .LBB2_9
; %bb.10:
	scratch_load_b64 v[2:3], off, off offset:2128 th:TH_LOAD_LU ; 8-byte Folded Reload
	s_wait_loadcnt 0x0
	v_add_co_u32 v2, vcc_lo, s20, v2
	s_wait_alu 0xfffd
	v_add_co_ci_u32_e64 v3, null, s21, v3, vcc_lo
	global_store_b64 v[2:3], v[0:1], off
.LBB2_11:
	s_nop 0
	s_sendmsg sendmsg(MSG_DEALLOC_VGPRS)
	s_endpgm
	.section	.rodata,"a",@progbits
	.p2align	6, 0x0
	.amdhsa_kernel _ZN4RAJA6policy3hip4impl18forallp_hip_kernelINS1_8hip_execINS_17iteration_mapping6DirectENS_3hip11IndexGlobalILNS_9named_dimE0ELi256ELi0EEENS7_40AvoidDeviceMaxThreadOccupancyConcretizerINS7_34FractionOffsetOccupancyConcretizerINS_8FractionImLm1ELm1EEELln1EEEEELb1EEENS_9Iterators16numeric_iteratorIllPlEEZN8rajaperf4apps6EDGE3D17runHipVariantImplILm256EEEvNSM_9VariantIDEEUllE0_lNS_4expt15ForallParamPackIJEEES6_SA_TnNSt9enable_ifIXaasr3std10is_base_ofINS5_10DirectBaseET4_EE5valuegtsrT5_10block_sizeLi0EEmE4typeELm256EEEvT1_T0_T2_T3_
		.amdhsa_group_segment_fixed_size 0
		.amdhsa_private_segment_fixed_size 2144
		.amdhsa_kernarg_size 220
		.amdhsa_user_sgpr_count 2
		.amdhsa_user_sgpr_dispatch_ptr 0
		.amdhsa_user_sgpr_queue_ptr 0
		.amdhsa_user_sgpr_kernarg_segment_ptr 1
		.amdhsa_user_sgpr_dispatch_id 0
		.amdhsa_user_sgpr_private_segment_size 0
		.amdhsa_wavefront_size32 1
		.amdhsa_uses_dynamic_stack 0
		.amdhsa_enable_private_segment 1
		.amdhsa_system_sgpr_workgroup_id_x 1
		.amdhsa_system_sgpr_workgroup_id_y 0
		.amdhsa_system_sgpr_workgroup_id_z 0
		.amdhsa_system_sgpr_workgroup_info 0
		.amdhsa_system_vgpr_workitem_id 0
		.amdhsa_next_free_vgpr 256
		.amdhsa_next_free_sgpr 68
		.amdhsa_reserve_vcc 1
		.amdhsa_float_round_mode_32 0
		.amdhsa_float_round_mode_16_64 0
		.amdhsa_float_denorm_mode_32 3
		.amdhsa_float_denorm_mode_16_64 3
		.amdhsa_fp16_overflow 0
		.amdhsa_workgroup_processor_mode 1
		.amdhsa_memory_ordered 1
		.amdhsa_forward_progress 1
		.amdhsa_inst_pref_size 126
		.amdhsa_round_robin_scheduling 0
		.amdhsa_exception_fp_ieee_invalid_op 0
		.amdhsa_exception_fp_denorm_src 0
		.amdhsa_exception_fp_ieee_div_zero 0
		.amdhsa_exception_fp_ieee_overflow 0
		.amdhsa_exception_fp_ieee_underflow 0
		.amdhsa_exception_fp_ieee_inexact 0
		.amdhsa_exception_int_div_zero 0
	.end_amdhsa_kernel
	.section	.text._ZN4RAJA6policy3hip4impl18forallp_hip_kernelINS1_8hip_execINS_17iteration_mapping6DirectENS_3hip11IndexGlobalILNS_9named_dimE0ELi256ELi0EEENS7_40AvoidDeviceMaxThreadOccupancyConcretizerINS7_34FractionOffsetOccupancyConcretizerINS_8FractionImLm1ELm1EEELln1EEEEELb1EEENS_9Iterators16numeric_iteratorIllPlEEZN8rajaperf4apps6EDGE3D17runHipVariantImplILm256EEEvNSM_9VariantIDEEUllE0_lNS_4expt15ForallParamPackIJEEES6_SA_TnNSt9enable_ifIXaasr3std10is_base_ofINS5_10DirectBaseET4_EE5valuegtsrT5_10block_sizeLi0EEmE4typeELm256EEEvT1_T0_T2_T3_,"axG",@progbits,_ZN4RAJA6policy3hip4impl18forallp_hip_kernelINS1_8hip_execINS_17iteration_mapping6DirectENS_3hip11IndexGlobalILNS_9named_dimE0ELi256ELi0EEENS7_40AvoidDeviceMaxThreadOccupancyConcretizerINS7_34FractionOffsetOccupancyConcretizerINS_8FractionImLm1ELm1EEELln1EEEEELb1EEENS_9Iterators16numeric_iteratorIllPlEEZN8rajaperf4apps6EDGE3D17runHipVariantImplILm256EEEvNSM_9VariantIDEEUllE0_lNS_4expt15ForallParamPackIJEEES6_SA_TnNSt9enable_ifIXaasr3std10is_base_ofINS5_10DirectBaseET4_EE5valuegtsrT5_10block_sizeLi0EEmE4typeELm256EEEvT1_T0_T2_T3_,comdat
.Lfunc_end2:
	.size	_ZN4RAJA6policy3hip4impl18forallp_hip_kernelINS1_8hip_execINS_17iteration_mapping6DirectENS_3hip11IndexGlobalILNS_9named_dimE0ELi256ELi0EEENS7_40AvoidDeviceMaxThreadOccupancyConcretizerINS7_34FractionOffsetOccupancyConcretizerINS_8FractionImLm1ELm1EEELln1EEEEELb1EEENS_9Iterators16numeric_iteratorIllPlEEZN8rajaperf4apps6EDGE3D17runHipVariantImplILm256EEEvNSM_9VariantIDEEUllE0_lNS_4expt15ForallParamPackIJEEES6_SA_TnNSt9enable_ifIXaasr3std10is_base_ofINS5_10DirectBaseET4_EE5valuegtsrT5_10block_sizeLi0EEmE4typeELm256EEEvT1_T0_T2_T3_, .Lfunc_end2-_ZN4RAJA6policy3hip4impl18forallp_hip_kernelINS1_8hip_execINS_17iteration_mapping6DirectENS_3hip11IndexGlobalILNS_9named_dimE0ELi256ELi0EEENS7_40AvoidDeviceMaxThreadOccupancyConcretizerINS7_34FractionOffsetOccupancyConcretizerINS_8FractionImLm1ELm1EEELln1EEEEELb1EEENS_9Iterators16numeric_iteratorIllPlEEZN8rajaperf4apps6EDGE3D17runHipVariantImplILm256EEEvNSM_9VariantIDEEUllE0_lNS_4expt15ForallParamPackIJEEES6_SA_TnNSt9enable_ifIXaasr3std10is_base_ofINS5_10DirectBaseET4_EE5valuegtsrT5_10block_sizeLi0EEmE4typeELm256EEEvT1_T0_T2_T3_
                                        ; -- End function
	.set _ZN4RAJA6policy3hip4impl18forallp_hip_kernelINS1_8hip_execINS_17iteration_mapping6DirectENS_3hip11IndexGlobalILNS_9named_dimE0ELi256ELi0EEENS7_40AvoidDeviceMaxThreadOccupancyConcretizerINS7_34FractionOffsetOccupancyConcretizerINS_8FractionImLm1ELm1EEELln1EEEEELb1EEENS_9Iterators16numeric_iteratorIllPlEEZN8rajaperf4apps6EDGE3D17runHipVariantImplILm256EEEvNSM_9VariantIDEEUllE0_lNS_4expt15ForallParamPackIJEEES6_SA_TnNSt9enable_ifIXaasr3std10is_base_ofINS5_10DirectBaseET4_EE5valuegtsrT5_10block_sizeLi0EEmE4typeELm256EEEvT1_T0_T2_T3_.num_vgpr, 256
	.set _ZN4RAJA6policy3hip4impl18forallp_hip_kernelINS1_8hip_execINS_17iteration_mapping6DirectENS_3hip11IndexGlobalILNS_9named_dimE0ELi256ELi0EEENS7_40AvoidDeviceMaxThreadOccupancyConcretizerINS7_34FractionOffsetOccupancyConcretizerINS_8FractionImLm1ELm1EEELln1EEEEELb1EEENS_9Iterators16numeric_iteratorIllPlEEZN8rajaperf4apps6EDGE3D17runHipVariantImplILm256EEEvNSM_9VariantIDEEUllE0_lNS_4expt15ForallParamPackIJEEES6_SA_TnNSt9enable_ifIXaasr3std10is_base_ofINS5_10DirectBaseET4_EE5valuegtsrT5_10block_sizeLi0EEmE4typeELm256EEEvT1_T0_T2_T3_.num_agpr, 0
	.set _ZN4RAJA6policy3hip4impl18forallp_hip_kernelINS1_8hip_execINS_17iteration_mapping6DirectENS_3hip11IndexGlobalILNS_9named_dimE0ELi256ELi0EEENS7_40AvoidDeviceMaxThreadOccupancyConcretizerINS7_34FractionOffsetOccupancyConcretizerINS_8FractionImLm1ELm1EEELln1EEEEELb1EEENS_9Iterators16numeric_iteratorIllPlEEZN8rajaperf4apps6EDGE3D17runHipVariantImplILm256EEEvNSM_9VariantIDEEUllE0_lNS_4expt15ForallParamPackIJEEES6_SA_TnNSt9enable_ifIXaasr3std10is_base_ofINS5_10DirectBaseET4_EE5valuegtsrT5_10block_sizeLi0EEmE4typeELm256EEEvT1_T0_T2_T3_.numbered_sgpr, 68
	.set _ZN4RAJA6policy3hip4impl18forallp_hip_kernelINS1_8hip_execINS_17iteration_mapping6DirectENS_3hip11IndexGlobalILNS_9named_dimE0ELi256ELi0EEENS7_40AvoidDeviceMaxThreadOccupancyConcretizerINS7_34FractionOffsetOccupancyConcretizerINS_8FractionImLm1ELm1EEELln1EEEEELb1EEENS_9Iterators16numeric_iteratorIllPlEEZN8rajaperf4apps6EDGE3D17runHipVariantImplILm256EEEvNSM_9VariantIDEEUllE0_lNS_4expt15ForallParamPackIJEEES6_SA_TnNSt9enable_ifIXaasr3std10is_base_ofINS5_10DirectBaseET4_EE5valuegtsrT5_10block_sizeLi0EEmE4typeELm256EEEvT1_T0_T2_T3_.num_named_barrier, 0
	.set _ZN4RAJA6policy3hip4impl18forallp_hip_kernelINS1_8hip_execINS_17iteration_mapping6DirectENS_3hip11IndexGlobalILNS_9named_dimE0ELi256ELi0EEENS7_40AvoidDeviceMaxThreadOccupancyConcretizerINS7_34FractionOffsetOccupancyConcretizerINS_8FractionImLm1ELm1EEELln1EEEEELb1EEENS_9Iterators16numeric_iteratorIllPlEEZN8rajaperf4apps6EDGE3D17runHipVariantImplILm256EEEvNSM_9VariantIDEEUllE0_lNS_4expt15ForallParamPackIJEEES6_SA_TnNSt9enable_ifIXaasr3std10is_base_ofINS5_10DirectBaseET4_EE5valuegtsrT5_10block_sizeLi0EEmE4typeELm256EEEvT1_T0_T2_T3_.private_seg_size, 2144
	.set _ZN4RAJA6policy3hip4impl18forallp_hip_kernelINS1_8hip_execINS_17iteration_mapping6DirectENS_3hip11IndexGlobalILNS_9named_dimE0ELi256ELi0EEENS7_40AvoidDeviceMaxThreadOccupancyConcretizerINS7_34FractionOffsetOccupancyConcretizerINS_8FractionImLm1ELm1EEELln1EEEEELb1EEENS_9Iterators16numeric_iteratorIllPlEEZN8rajaperf4apps6EDGE3D17runHipVariantImplILm256EEEvNSM_9VariantIDEEUllE0_lNS_4expt15ForallParamPackIJEEES6_SA_TnNSt9enable_ifIXaasr3std10is_base_ofINS5_10DirectBaseET4_EE5valuegtsrT5_10block_sizeLi0EEmE4typeELm256EEEvT1_T0_T2_T3_.uses_vcc, 1
	.set _ZN4RAJA6policy3hip4impl18forallp_hip_kernelINS1_8hip_execINS_17iteration_mapping6DirectENS_3hip11IndexGlobalILNS_9named_dimE0ELi256ELi0EEENS7_40AvoidDeviceMaxThreadOccupancyConcretizerINS7_34FractionOffsetOccupancyConcretizerINS_8FractionImLm1ELm1EEELln1EEEEELb1EEENS_9Iterators16numeric_iteratorIllPlEEZN8rajaperf4apps6EDGE3D17runHipVariantImplILm256EEEvNSM_9VariantIDEEUllE0_lNS_4expt15ForallParamPackIJEEES6_SA_TnNSt9enable_ifIXaasr3std10is_base_ofINS5_10DirectBaseET4_EE5valuegtsrT5_10block_sizeLi0EEmE4typeELm256EEEvT1_T0_T2_T3_.uses_flat_scratch, 1
	.set _ZN4RAJA6policy3hip4impl18forallp_hip_kernelINS1_8hip_execINS_17iteration_mapping6DirectENS_3hip11IndexGlobalILNS_9named_dimE0ELi256ELi0EEENS7_40AvoidDeviceMaxThreadOccupancyConcretizerINS7_34FractionOffsetOccupancyConcretizerINS_8FractionImLm1ELm1EEELln1EEEEELb1EEENS_9Iterators16numeric_iteratorIllPlEEZN8rajaperf4apps6EDGE3D17runHipVariantImplILm256EEEvNSM_9VariantIDEEUllE0_lNS_4expt15ForallParamPackIJEEES6_SA_TnNSt9enable_ifIXaasr3std10is_base_ofINS5_10DirectBaseET4_EE5valuegtsrT5_10block_sizeLi0EEmE4typeELm256EEEvT1_T0_T2_T3_.has_dyn_sized_stack, 0
	.set _ZN4RAJA6policy3hip4impl18forallp_hip_kernelINS1_8hip_execINS_17iteration_mapping6DirectENS_3hip11IndexGlobalILNS_9named_dimE0ELi256ELi0EEENS7_40AvoidDeviceMaxThreadOccupancyConcretizerINS7_34FractionOffsetOccupancyConcretizerINS_8FractionImLm1ELm1EEELln1EEEEELb1EEENS_9Iterators16numeric_iteratorIllPlEEZN8rajaperf4apps6EDGE3D17runHipVariantImplILm256EEEvNSM_9VariantIDEEUllE0_lNS_4expt15ForallParamPackIJEEES6_SA_TnNSt9enable_ifIXaasr3std10is_base_ofINS5_10DirectBaseET4_EE5valuegtsrT5_10block_sizeLi0EEmE4typeELm256EEEvT1_T0_T2_T3_.has_recursion, 0
	.set _ZN4RAJA6policy3hip4impl18forallp_hip_kernelINS1_8hip_execINS_17iteration_mapping6DirectENS_3hip11IndexGlobalILNS_9named_dimE0ELi256ELi0EEENS7_40AvoidDeviceMaxThreadOccupancyConcretizerINS7_34FractionOffsetOccupancyConcretizerINS_8FractionImLm1ELm1EEELln1EEEEELb1EEENS_9Iterators16numeric_iteratorIllPlEEZN8rajaperf4apps6EDGE3D17runHipVariantImplILm256EEEvNSM_9VariantIDEEUllE0_lNS_4expt15ForallParamPackIJEEES6_SA_TnNSt9enable_ifIXaasr3std10is_base_ofINS5_10DirectBaseET4_EE5valuegtsrT5_10block_sizeLi0EEmE4typeELm256EEEvT1_T0_T2_T3_.has_indirect_call, 0
	.section	.AMDGPU.csdata,"",@progbits
; Kernel info:
; codeLenInByte = 16108
; TotalNumSgprs: 70
; NumVgprs: 256
; ScratchSize: 2144
; MemoryBound: 0
; FloatMode: 240
; IeeeMode: 1
; LDSByteSize: 0 bytes/workgroup (compile time only)
; SGPRBlocks: 0
; VGPRBlocks: 31
; NumSGPRsForWavesPerEU: 70
; NumVGPRsForWavesPerEU: 256
; Occupancy: 5
; WaveLimiterHint : 1
; COMPUTE_PGM_RSRC2:SCRATCH_EN: 1
; COMPUTE_PGM_RSRC2:USER_SGPR: 2
; COMPUTE_PGM_RSRC2:TRAP_HANDLER: 0
; COMPUTE_PGM_RSRC2:TGID_X_EN: 1
; COMPUTE_PGM_RSRC2:TGID_Y_EN: 0
; COMPUTE_PGM_RSRC2:TGID_Z_EN: 0
; COMPUTE_PGM_RSRC2:TIDIG_COMP_CNT: 0
	.section	.AMDGPU.gpr_maximums,"",@progbits
	.set amdgpu.max_num_vgpr, 0
	.set amdgpu.max_num_agpr, 0
	.set amdgpu.max_num_sgpr, 0
	.section	.AMDGPU.csdata,"",@progbits
	.type	__hip_cuid_7096c126c3728434,@object ; @__hip_cuid_7096c126c3728434
	.section	.bss,"aw",@nobits
	.globl	__hip_cuid_7096c126c3728434
__hip_cuid_7096c126c3728434:
	.byte	0                               ; 0x0
	.size	__hip_cuid_7096c126c3728434, 1

	.ident	"AMD clang version 22.0.0git (https://github.com/RadeonOpenCompute/llvm-project roc-7.2.4 26084 f58b06dce1f9c15707c5f808fd002e18c2accf7e)"
	.section	".note.GNU-stack","",@progbits
	.addrsig
	.addrsig_sym __hip_cuid_7096c126c3728434
	.amdgpu_metadata
---
amdhsa.kernels:
  - .args:
      - .address_space:  global
        .offset:         0
        .size:           8
        .value_kind:     global_buffer
      - .address_space:  global
        .offset:         8
        .size:           8
        .value_kind:     global_buffer
      - .address_space:  global
        .offset:         16
        .size:           8
        .value_kind:     global_buffer
      - .address_space:  global
        .offset:         24
        .size:           8
        .value_kind:     global_buffer
      - .address_space:  global
        .offset:         32
        .size:           8
        .value_kind:     global_buffer
      - .address_space:  global
        .offset:         40
        .size:           8
        .value_kind:     global_buffer
      - .address_space:  global
        .offset:         48
        .size:           8
        .value_kind:     global_buffer
      - .address_space:  global
        .offset:         56
        .size:           8
        .value_kind:     global_buffer
      - .address_space:  global
        .offset:         64
        .size:           8
        .value_kind:     global_buffer
      - .address_space:  global
        .offset:         72
        .size:           8
        .value_kind:     global_buffer
      - .address_space:  global
        .offset:         80
        .size:           8
        .value_kind:     global_buffer
      - .address_space:  global
        .offset:         88
        .size:           8
        .value_kind:     global_buffer
      - .address_space:  global
        .offset:         96
        .size:           8
        .value_kind:     global_buffer
      - .address_space:  global
        .offset:         104
        .size:           8
        .value_kind:     global_buffer
      - .address_space:  global
        .offset:         112
        .size:           8
        .value_kind:     global_buffer
      - .address_space:  global
        .offset:         120
        .size:           8
        .value_kind:     global_buffer
      - .address_space:  global
        .offset:         128
        .size:           8
        .value_kind:     global_buffer
      - .address_space:  global
        .offset:         136
        .size:           8
        .value_kind:     global_buffer
      - .address_space:  global
        .offset:         144
        .size:           8
        .value_kind:     global_buffer
      - .address_space:  global
        .offset:         152
        .size:           8
        .value_kind:     global_buffer
      - .address_space:  global
        .offset:         160
        .size:           8
        .value_kind:     global_buffer
      - .address_space:  global
        .offset:         168
        .size:           8
        .value_kind:     global_buffer
      - .address_space:  global
        .offset:         176
        .size:           8
        .value_kind:     global_buffer
      - .address_space:  global
        .offset:         184
        .size:           8
        .value_kind:     global_buffer
      - .address_space:  global
        .offset:         192
        .size:           8
        .value_kind:     global_buffer
      - .offset:         200
        .size:           8
        .value_kind:     by_value
      - .offset:         208
        .size:           8
        .value_kind:     by_value
    .group_segment_fixed_size: 0
    .kernarg_segment_align: 8
    .kernarg_segment_size: 216
    .language:       OpenCL C
    .language_version:
      - 2
      - 0
    .max_flat_workgroup_size: 256
    .name:           _ZN8rajaperf4apps6edge3dILm256EEEvPdS2_S2_S2_S2_S2_S2_S2_S2_S2_S2_S2_S2_S2_S2_S2_S2_S2_S2_S2_S2_S2_S2_S2_S2_ll
    .private_segment_fixed_size: 2144
    .sgpr_count:     70
    .sgpr_spill_count: 0
    .symbol:         _ZN8rajaperf4apps6edge3dILm256EEEvPdS2_S2_S2_S2_S2_S2_S2_S2_S2_S2_S2_S2_S2_S2_S2_S2_S2_S2_S2_S2_S2_S2_S2_S2_ll.kd
    .uniform_work_group_size: 1
    .uses_dynamic_stack: false
    .vgpr_count:     256
    .vgpr_spill_count: 270
    .wavefront_size: 32
    .workgroup_processor_mode: 1
  - .args:
      - .offset:         0
        .size:           8
        .value_kind:     by_value
      - .offset:         8
        .size:           8
        .value_kind:     by_value
      - .offset:         16
        .size:           200
        .value_kind:     by_value
    .group_segment_fixed_size: 0
    .kernarg_segment_align: 8
    .kernarg_segment_size: 216
    .language:       OpenCL C
    .language_version:
      - 2
      - 0
    .max_flat_workgroup_size: 256
    .name:           _ZN8rajaperf17lambda_hip_forallILm256EZNS_4apps6EDGE3D17runHipVariantImplILm256EEEvNS_9VariantIDEEUllE_EEvllT0_
    .private_segment_fixed_size: 2144
    .sgpr_count:     62
    .sgpr_spill_count: 0
    .symbol:         _ZN8rajaperf17lambda_hip_forallILm256EZNS_4apps6EDGE3D17runHipVariantImplILm256EEEvNS_9VariantIDEEUllE_EEvllT0_.kd
    .uniform_work_group_size: 1
    .uses_dynamic_stack: false
    .vgpr_count:     256
    .vgpr_spill_count: 270
    .wavefront_size: 32
    .workgroup_processor_mode: 1
  - .args:
      - .offset:         0
        .size:           200
        .value_kind:     by_value
      - .offset:         200
        .size:           8
        .value_kind:     by_value
      - .offset:         208
        .size:           8
        .value_kind:     by_value
      - .offset:         216
        .size:           1
        .value_kind:     by_value
    .group_segment_fixed_size: 0
    .kernarg_segment_align: 8
    .kernarg_segment_size: 220
    .language:       OpenCL C
    .language_version:
      - 2
      - 0
    .max_flat_workgroup_size: 256
    .name:           _ZN4RAJA6policy3hip4impl18forallp_hip_kernelINS1_8hip_execINS_17iteration_mapping6DirectENS_3hip11IndexGlobalILNS_9named_dimE0ELi256ELi0EEENS7_40AvoidDeviceMaxThreadOccupancyConcretizerINS7_34FractionOffsetOccupancyConcretizerINS_8FractionImLm1ELm1EEELln1EEEEELb1EEENS_9Iterators16numeric_iteratorIllPlEEZN8rajaperf4apps6EDGE3D17runHipVariantImplILm256EEEvNSM_9VariantIDEEUllE0_lNS_4expt15ForallParamPackIJEEES6_SA_TnNSt9enable_ifIXaasr3std10is_base_ofINS5_10DirectBaseET4_EE5valuegtsrT5_10block_sizeLi0EEmE4typeELm256EEEvT1_T0_T2_T3_
    .private_segment_fixed_size: 2144
    .sgpr_count:     70
    .sgpr_spill_count: 0
    .symbol:         _ZN4RAJA6policy3hip4impl18forallp_hip_kernelINS1_8hip_execINS_17iteration_mapping6DirectENS_3hip11IndexGlobalILNS_9named_dimE0ELi256ELi0EEENS7_40AvoidDeviceMaxThreadOccupancyConcretizerINS7_34FractionOffsetOccupancyConcretizerINS_8FractionImLm1ELm1EEELln1EEEEELb1EEENS_9Iterators16numeric_iteratorIllPlEEZN8rajaperf4apps6EDGE3D17runHipVariantImplILm256EEEvNSM_9VariantIDEEUllE0_lNS_4expt15ForallParamPackIJEEES6_SA_TnNSt9enable_ifIXaasr3std10is_base_ofINS5_10DirectBaseET4_EE5valuegtsrT5_10block_sizeLi0EEmE4typeELm256EEEvT1_T0_T2_T3_.kd
    .uniform_work_group_size: 1
    .uses_dynamic_stack: false
    .vgpr_count:     256
    .vgpr_spill_count: 270
    .wavefront_size: 32
    .workgroup_processor_mode: 1
amdhsa.target:   amdgcn-amd-amdhsa--gfx1201
amdhsa.version:
  - 1
  - 2
...

	.end_amdgpu_metadata
